;; amdgpu-corpus repo=pytorch/pytorch kind=compiled arch=gfx906 opt=O3
	.amdgcn_target "amdgcn-amd-amdhsa--gfx906"
	.amdhsa_code_object_version 6
	.text
	.p2align	2                               ; -- Begin function _ZN2at6native25elementwise_kernel_helperILb0EZZZNS0_12_GLOBAL__N_137scaled_modified_bessel_k0_kernel_cudaERNS_18TensorIteratorBaseEENKUlvE_clEvENKUlvE_clEvEUldE_NS0_6memory8policies11unroll_baseILi256ESt5arrayIPcLm2EE23TrivialOffsetCalculatorILi1EjESF_NS8_15LoadWithoutCastENS8_16StoreWithoutCastELi4ELi1EEEEEvT0_T1_
	.type	_ZN2at6native25elementwise_kernel_helperILb0EZZZNS0_12_GLOBAL__N_137scaled_modified_bessel_k0_kernel_cudaERNS_18TensorIteratorBaseEENKUlvE_clEvENKUlvE_clEvEUldE_NS0_6memory8policies11unroll_baseILi256ESt5arrayIPcLm2EE23TrivialOffsetCalculatorILi1EjESF_NS8_15LoadWithoutCastENS8_16StoreWithoutCastELi4ELi1EEEEEvT0_T1_,@function
_ZN2at6native25elementwise_kernel_helperILb0EZZZNS0_12_GLOBAL__N_137scaled_modified_bessel_k0_kernel_cudaERNS_18TensorIteratorBaseEENKUlvE_clEvENKUlvE_clEvEUldE_NS0_6memory8policies11unroll_baseILi256ESt5arrayIPcLm2EE23TrivialOffsetCalculatorILi1EjESF_NS8_15LoadWithoutCastENS8_16StoreWithoutCastELi4ELi1EEEEEvT0_T1_: ; @_ZN2at6native25elementwise_kernel_helperILb0EZZZNS0_12_GLOBAL__N_137scaled_modified_bessel_k0_kernel_cudaERNS_18TensorIteratorBaseEENKUlvE_clEvENKUlvE_clEvEUldE_NS0_6memory8policies11unroll_baseILi256ESt5arrayIPcLm2EE23TrivialOffsetCalculatorILi1EjESF_NS8_15LoadWithoutCastENS8_16StoreWithoutCastELi4ELi1EEEEEvT0_T1_
; %bb.0:
	s_waitcnt vmcnt(0) expcnt(0) lgkmcnt(0)
	v_and_b32_e32 v22, 0x3ff, v31
	s_lshl_b32 s18, s12, 10
	v_mov_b32_e32 v16, 0
	v_mov_b32_e32 v18, 0
	v_cmp_lt_i32_e64 s[4:5], v22, v4
	v_mov_b32_e32 v17, 0
	v_or_b32_e32 v5, s18, v22
	v_mov_b32_e32 v19, 0
	v_mov_b32_e32 v10, v22
	s_and_saveexec_b64 s[6:7], s[4:5]
	s_cbranch_execz .LBB0_2
; %bb.1:
	v_mov_b32_e32 v6, 0
	v_lshlrev_b64 v[6:7], 3, v[5:6]
	v_add_u32_e32 v10, 0x100, v22
	v_add_co_u32_e32 v6, vcc, v2, v6
	v_addc_co_u32_e32 v7, vcc, v3, v7, vcc
	flat_load_dwordx2 v[18:19], v[6:7]
.LBB0_2:
	s_or_b64 exec, exec, s[6:7]
	v_cmp_lt_i32_e32 vcc, v10, v4
	s_and_saveexec_b64 s[6:7], vcc
	s_cbranch_execz .LBB0_4
; %bb.3:
	v_add_u32_e32 v6, s18, v10
	v_mov_b32_e32 v7, 0
	v_lshlrev_b64 v[6:7], 3, v[6:7]
	v_add_u32_e32 v10, 0x100, v10
	v_add_co_u32_e32 v6, vcc, v2, v6
	v_addc_co_u32_e32 v7, vcc, v3, v7, vcc
	flat_load_dwordx2 v[16:17], v[6:7]
.LBB0_4:
	s_or_b64 exec, exec, s[6:7]
	v_mov_b32_e32 v6, 0
	v_mov_b32_e32 v8, 0
	;; [unrolled: 1-line block ×4, first 2 shown]
	v_cmp_lt_i32_e32 vcc, v10, v4
	s_and_saveexec_b64 s[6:7], vcc
	s_cbranch_execz .LBB0_6
; %bb.5:
	v_add_u32_e32 v8, s18, v10
	v_mov_b32_e32 v9, 0
	v_lshlrev_b64 v[8:9], 3, v[8:9]
	v_add_u32_e32 v10, 0x100, v10
	v_add_co_u32_e32 v8, vcc, v2, v8
	v_addc_co_u32_e32 v9, vcc, v3, v9, vcc
	flat_load_dwordx2 v[8:9], v[8:9]
.LBB0_6:
	s_or_b64 exec, exec, s[6:7]
	v_cmp_lt_i32_e32 vcc, v10, v4
	s_and_saveexec_b64 s[6:7], vcc
	s_cbranch_execz .LBB0_8
; %bb.7:
	v_add_u32_e32 v6, s18, v10
	v_mov_b32_e32 v7, 0
	v_lshlrev_b64 v[6:7], 3, v[6:7]
	v_add_co_u32_e32 v2, vcc, v2, v6
	v_addc_co_u32_e32 v3, vcc, v3, v7, vcc
	flat_load_dwordx2 v[6:7], v[2:3]
.LBB0_8:
	s_or_b64 exec, exec, s[6:7]
	v_mov_b32_e32 v2, 0
	v_mov_b32_e32 v3, v2
	;; [unrolled: 1-line block ×8, first 2 shown]
	s_and_saveexec_b64 s[8:9], s[4:5]
	s_cbranch_execz .LBB0_18
; %bb.9:
	s_waitcnt vmcnt(0) lgkmcnt(0)
	v_cmp_neq_f64_e32 vcc, 0, v[18:19]
	v_mov_b32_e32 v2, 0
	v_mov_b32_e32 v3, 0x7ff00000
	s_and_saveexec_b64 s[10:11], vcc
	s_cbranch_execz .LBB0_17
; %bb.10:
	v_cmp_ngt_f64_e32 vcc, 0, v[18:19]
	v_mov_b32_e32 v2, 0
	v_mov_b32_e32 v3, 0x7ff80000
	s_and_saveexec_b64 s[12:13], vcc
	s_cbranch_execz .LBB0_16
; %bb.11:
	v_cmp_ge_f64_e32 vcc, 2.0, v[18:19]
                                        ; implicit-def: $vgpr2_vgpr3
	s_and_saveexec_b64 s[6:7], vcc
	s_xor_b64 s[14:15], exec, s[6:7]
	s_cbranch_execz .LBB0_13
; %bb.12:
	v_mul_f64 v[2:3], v[18:19], 0.5
	s_mov_b32 s7, 0x3fe55555
	s_mov_b32 s6, 0x55555555
	s_mov_b32 s16, 0xbf559e2b
	s_mov_b32 s17, 0x3fc3ab76
	s_mov_b32 s21, 0x3ca3cee1
	s_mov_b32 s20, 0xe6a7fd77
	v_frexp_mant_f64_e32 v[10:11], v[2:3]
	v_cmp_gt_f64_e32 vcc, s[6:7], v[10:11]
	s_mov_b32 s6, 0x55555780
	v_cndmask_b32_e64 v12, 0, 1, vcc
	v_ldexp_f64 v[10:11], v[10:11], v12
	v_add_f64 v[12:13], v[10:11], 1.0
	v_add_f64 v[23:24], v[10:11], -1.0
	v_rcp_f64_e32 v[14:15], v[12:13]
	v_add_f64 v[25:26], v[12:13], -1.0
	v_add_f64 v[10:11], v[10:11], -v[25:26]
	v_fma_f64 v[20:21], -v[12:13], v[14:15], 1.0
	v_fma_f64 v[14:15], v[20:21], v[14:15], v[14:15]
	v_fma_f64 v[20:21], -v[12:13], v[14:15], 1.0
	v_fma_f64 v[14:15], v[20:21], v[14:15], v[14:15]
	v_mul_f64 v[20:21], v[23:24], v[14:15]
	v_mul_f64 v[27:28], v[12:13], v[20:21]
	v_fma_f64 v[12:13], v[20:21], v[12:13], -v[27:28]
	v_fma_f64 v[10:11], v[20:21], v[10:11], v[12:13]
	v_add_f64 v[12:13], v[27:28], v[10:11]
	v_add_f64 v[25:26], v[23:24], -v[12:13]
	v_add_f64 v[27:28], v[12:13], -v[27:28]
	;; [unrolled: 1-line block ×5, first 2 shown]
	v_mov_b32_e32 v23, 0x6b47b09a
	v_mov_b32_e32 v24, 0x3fc38538
	v_add_f64 v[10:11], v[10:11], v[12:13]
	v_add_f64 v[10:11], v[25:26], v[10:11]
	v_mul_f64 v[10:11], v[14:15], v[10:11]
	v_add_f64 v[12:13], v[20:21], v[10:11]
	v_mul_f64 v[14:15], v[12:13], v[12:13]
	v_fma_f64 v[23:24], v[14:15], s[16:17], v[23:24]
	s_mov_b32 s16, 0xd7f4df2e
	s_mov_b32 s17, 0x3fc7474d
	v_mul_f64 v[25:26], v[12:13], v[14:15]
	v_fma_f64 v[23:24], v[14:15], v[23:24], s[16:17]
	s_mov_b32 s16, 0x16291751
	s_mov_b32 s17, 0x3fcc71c0
	v_fma_f64 v[23:24], v[14:15], v[23:24], s[16:17]
	s_mov_b32 s16, 0x9b27acf1
	s_mov_b32 s17, 0x3fd24924
	;; [unrolled: 3-line block ×4, first 2 shown]
	v_fma_f64 v[14:15], v[14:15], v[23:24], s[6:7]
	v_ldexp_f64 v[23:24], v[12:13], 1
	v_add_f64 v[12:13], v[12:13], -v[20:21]
	s_mov_b32 s7, 0x3fe62e42
	s_mov_b32 s6, 0xfefa39ef
	v_mul_f64 v[14:15], v[25:26], v[14:15]
	v_frexp_exp_i32_f64_e32 v25, v[2:3]
	v_add_f64 v[10:11], v[10:11], -v[12:13]
	v_add_f64 v[20:21], v[23:24], v[14:15]
	v_subbrev_co_u32_e32 v25, vcc, 0, v25, vcc
	v_cvt_f64_i32_e32 v[25:26], v25
	v_ldexp_f64 v[10:11], v[10:11], 1
	v_mul_f64 v[27:28], v[25:26], s[6:7]
	v_add_f64 v[12:13], v[20:21], -v[23:24]
	v_fma_f64 v[23:24], v[25:26], s[6:7], -v[27:28]
	v_add_f64 v[12:13], v[14:15], -v[12:13]
	s_mov_b32 s7, 0xbfe62e42
	v_fma_f64 v[14:15], v[25:26], s[16:17], v[23:24]
	v_add_f64 v[10:11], v[10:11], v[12:13]
	s_mov_b32 s17, 0xbc7abc9e
	v_add_f64 v[12:13], v[27:28], v[14:15]
	v_add_f64 v[23:24], v[20:21], v[10:11]
	v_add_f64 v[27:28], v[12:13], -v[27:28]
	v_add_f64 v[25:26], v[12:13], v[23:24]
	v_add_f64 v[20:21], v[23:24], -v[20:21]
	v_add_f64 v[14:15], v[14:15], -v[27:28]
	v_add_f64 v[29:30], v[25:26], -v[12:13]
	v_add_f64 v[10:11], v[10:11], -v[20:21]
	v_add_f64 v[27:28], v[25:26], -v[29:30]
	v_add_f64 v[20:21], v[23:24], -v[29:30]
	v_add_f64 v[23:24], v[14:15], v[10:11]
	v_mov_b32_e32 v29, 0xc384c2aa
	v_mov_b32_e32 v30, 0x3d27fb0a
	v_add_f64 v[12:13], v[12:13], -v[27:28]
	v_fma_f64 v[27:28], v[18:19], v[18:19], -2.0
	v_add_f64 v[12:13], v[20:21], v[12:13]
	v_add_f64 v[20:21], v[23:24], -v[14:15]
	v_fma_f64 v[29:30], v[27:28], s[20:21], v[29:30]
	s_mov_b32 s21, 0xbca3cee1
	v_add_f64 v[31:32], v[10:11], -v[20:21]
	v_fma_f64 v[10:11], v[27:28], v[29:30], s[20:21]
	s_mov_b32 s20, 0x47512144
	s_mov_b32 s21, 0x3da6c25c
	v_add_f64 v[20:21], v[23:24], -v[20:21]
	v_add_f64 v[23:24], v[23:24], v[12:13]
	v_add_f64 v[10:11], v[10:11], s[20:21]
	s_mov_b32 s20, 0x67e58a13
	s_mov_b32 s21, 0x3e205c13
	v_add_f64 v[20:21], v[14:15], -v[20:21]
	v_add_f64 v[14:15], v[25:26], v[23:24]
	v_fma_f64 v[12:13], v[27:28], v[10:11], -v[29:30]
	v_add_f64 v[20:21], v[31:32], v[20:21]
	v_add_f64 v[25:26], v[14:15], -v[25:26]
	v_add_f64 v[12:13], v[12:13], s[20:21]
	s_mov_b32 s20, 0xe7f95efc
	s_mov_b32 s21, 0x3e9102bc
	v_add_f64 v[23:24], v[23:24], -v[25:26]
	v_fma_f64 v[10:11], v[27:28], v[12:13], -v[10:11]
	v_add_f64 v[20:21], v[20:21], v[23:24]
	v_add_f64 v[10:11], v[10:11], s[20:21]
	s_mov_b32 s20, 0xfe8cfca0
	s_mov_b32 s21, 0x3ef7f900
	v_add_f64 v[14:15], v[14:15], v[20:21]
	v_fma_f64 v[12:13], v[27:28], v[10:11], -v[12:13]
	v_add_f64 v[12:13], v[12:13], s[20:21]
	s_mov_b32 s20, 0x75633d73
	s_mov_b32 s21, 0x3f54b82e
	v_fma_f64 v[10:11], v[27:28], v[12:13], -v[10:11]
	v_add_f64 v[29:30], v[10:11], s[20:21]
	s_mov_b32 s20, 0x554a9085
	s_mov_b32 s21, 0x3fa26bf6
	;; [unrolled: 4-line block ×3, first 2 shown]
	v_fma_f64 v[12:13], v[27:28], v[10:11], -v[29:30]
	v_mov_b32_e32 v29, 0x977da589
	v_mov_b32_e32 v30, 0x3c833362
	v_add_f64 v[12:13], v[12:13], s[20:21]
	s_mov_b32 s21, 0xbc545cb7
	s_mov_b32 s20, 0x2134d0ef
	v_fma_f64 v[12:13], v[27:28], v[12:13], -v[10:11]
	v_fma_f64 v[27:28], v[18:19], 0.5, -2.0
	v_fma_f64 v[29:30], v[27:28], s[20:21], v[29:30]
	s_mov_b32 s21, 0x3c545cb7
	v_fma_f64 v[25:26], v[27:28], v[29:30], s[20:21]
	s_mov_b32 s20, 0x721ebbb4
	s_mov_b32 s21, 0xbcb184eb
	v_add_f64 v[25:26], v[25:26], s[20:21]
	s_mov_b32 s20, 0x93f65eba
	s_mov_b32 s21, 0x3cdee6d8
	v_fma_f64 v[29:30], v[27:28], v[25:26], -v[29:30]
	v_add_f64 v[29:30], v[29:30], s[20:21]
	s_mov_b32 s20, 0xc297fbeb
	s_mov_b32 s21, 0xbd0a5022
	v_fma_f64 v[25:26], v[27:28], v[29:30], -v[25:26]
	;; [unrolled: 4-line block ×24, first 2 shown]
	v_add_f64 v[25:26], v[25:26], s[20:21]
	s_mov_b32 s20, 0x652b82fe
	s_mov_b32 s21, 0x3ff71547
	v_mul_f64 v[23:24], v[18:19], s[20:21]
	s_mov_b32 s20, 0x77ac88c0
	s_mov_b32 s21, 0x3fc5f7ac
	v_fma_f64 v[29:30], v[27:28], v[25:26], -v[29:30]
	v_rndne_f64_e32 v[23:24], v[23:24]
	v_add_f64 v[29:30], v[29:30], s[20:21]
	v_fma_f64 v[18:19], v[23:24], s[6:7], v[18:19]
	s_mov_b32 s6, 0xc057cd8d
	s_mov_b32 s7, 0xbfd37feb
	v_fma_f64 v[25:26], v[27:28], v[29:30], -v[25:26]
	v_fma_f64 v[18:19], v[23:24], s[16:17], v[18:19]
	v_cvt_i32_f64_e32 v23, v[23:24]
	v_add_f64 v[25:26], v[25:26], s[6:7]
	s_mov_b32 s6, 0x6a5dcb37
	s_mov_b32 s7, 0x3e5ade15
	v_fma_f64 v[25:26], v[27:28], v[25:26], -v[29:30]
	v_mov_b32_e32 v27, 0xfca7ab0c
	v_mov_b32_e32 v28, 0x3e928af3
	v_fma_f64 v[27:28], v[18:19], s[6:7], v[27:28]
	s_mov_b32 s6, 0x623fde64
	s_mov_b32 s7, 0x3ec71dee
	v_fma_f64 v[27:28], v[18:19], v[27:28], s[6:7]
	s_mov_b32 s6, 0x7c89e6b0
	s_mov_b32 s7, 0x3efa0199
	;; [unrolled: 3-line block ×9, first 2 shown]
	v_add_f64 v[25:26], v[25:26], s[6:7]
	s_mov_b32 s6, 0xe9d2f61f
	s_mov_b32 s7, 0xbfe12166
	v_add_f64 v[12:13], v[12:13], s[6:7]
	s_mov_b32 s6, 0
	v_fma_f64 v[27:28], v[18:19], v[27:28], 1.0
	s_mov_b32 s7, 0x7ff00000
	v_cmp_neq_f64_e32 vcc, s[6:7], v[2:3]
	v_add_f64 v[25:26], v[25:26], -v[29:30]
	v_cmp_neq_f64_e64 s[6:7], 0, v[2:3]
	v_add_f64 v[10:11], v[12:13], -v[10:11]
	v_fma_f64 v[18:19], v[18:19], v[27:28], 1.0
	v_mul_f64 v[20:21], v[25:26], 0.5
	v_ldexp_f64 v[18:19], v[18:19], v23
	v_mov_b32_e32 v23, 0x7ff00000
	v_cndmask_b32_e32 v15, v23, v15, vcc
	v_mov_b32_e32 v23, 0xfff00000
	s_and_b64 vcc, s[6:7], vcc
	v_cndmask_b32_e64 v13, v23, v15, s[6:7]
	v_cndmask_b32_e32 v12, 0, v14, vcc
	v_mul_f64 v[2:3], v[18:19], v[20:21]
	v_mul_f64 v[2:3], v[12:13], v[2:3]
	v_fma_f64 v[2:3], v[10:11], 0.5, -v[2:3]
	v_mul_f64 v[2:3], v[18:19], v[2:3]
                                        ; implicit-def: $vgpr18_vgpr19
.LBB0_13:
	s_andn2_saveexec_b64 s[6:7], s[14:15]
	s_cbranch_execz .LBB0_15
; %bb.14:
	s_mov_b32 s14, 0
	s_mov_b32 s15, 0x40200000
	v_div_scale_f64 v[2:3], s[16:17], v[18:19], v[18:19], s[14:15]
	v_rcp_f64_e32 v[10:11], v[2:3]
	v_fma_f64 v[12:13], -v[2:3], v[10:11], 1.0
	v_fma_f64 v[10:11], v[10:11], v[12:13], v[10:11]
	v_div_scale_f64 v[12:13], vcc, s[14:15], v[18:19], s[14:15]
	v_fma_f64 v[14:15], -v[2:3], v[10:11], 1.0
	v_fma_f64 v[10:11], v[10:11], v[14:15], v[10:11]
	v_mul_f64 v[14:15], v[12:13], v[10:11]
	v_fma_f64 v[2:3], -v[2:3], v[14:15], v[12:13]
	v_div_fmas_f64 v[2:3], v[2:3], v[10:11], v[14:15]
	v_mov_b32_e32 v10, 0x93812603
	v_mov_b32_e32 v11, 0xbc72fecc
	;; [unrolled: 1-line block ×3, first 2 shown]
	v_div_fixup_f64 v[2:3], v[2:3], v[18:19], s[14:15]
	s_mov_b32 s15, 0x3c5871a5
	s_mov_b32 s14, 0xcf8c9ee1
	v_add_f64 v[2:3], v[2:3], -2.0
	v_fma_f64 v[10:11], v[2:3], s[14:15], v[10:11]
	s_mov_b32 s15, 0xbc5871a5
	v_fma_f64 v[12:13], v[2:3], v[10:11], s[14:15]
	s_mov_b32 s14, 0x41a8cdf4
	s_mov_b32 s15, 0x3c8e092e
	v_add_f64 v[12:13], v[12:13], s[14:15]
	s_mov_b32 s14, 0x74d77641
	s_mov_b32 s15, 0xbca82f94
	v_fma_f64 v[10:11], v[2:3], v[12:13], -v[10:11]
	v_add_f64 v[10:11], v[10:11], s[14:15]
	s_mov_b32 s14, 0x6b94785b
	s_mov_b32 s15, 0x3cc3dbf9
	v_fma_f64 v[12:13], v[2:3], v[10:11], -v[12:13]
	;; [unrolled: 4-line block ×17, first 2 shown]
	v_add_f64 v[10:11], v[10:11], s[14:15]
	s_mov_b32 s14, 0
	s_brev_b32 s15, 8
	v_cmp_gt_f64_e32 vcc, s[14:15], v[18:19]
	s_mov_b32 s14, 0xcc7470a9
	s_mov_b32 s15, 0x3eed413f
	v_fma_f64 v[12:13], v[2:3], v[10:11], -v[12:13]
	v_cndmask_b32_e32 v14, 0, v14, vcc
	v_ldexp_f64 v[14:15], v[18:19], v14
	v_add_f64 v[12:13], v[12:13], s[14:15]
	s_mov_b32 s14, 0xe7889f42
	s_mov_b32 s15, 0xbf20d797
	v_rsq_f64_e32 v[18:19], v[14:15]
	v_fma_f64 v[10:11], v[2:3], v[12:13], -v[10:11]
	v_add_f64 v[10:11], v[10:11], s[14:15]
	s_mov_b32 s14, 0xfca79342
	s_mov_b32 s15, 0x3f59b891
	v_mul_f64 v[20:21], v[14:15], v[18:19]
	v_mul_f64 v[18:19], v[18:19], 0.5
	v_fma_f64 v[12:13], v[2:3], v[10:11], -v[12:13]
	v_fma_f64 v[23:24], -v[18:19], v[20:21], 0.5
	v_add_f64 v[12:13], v[12:13], s[14:15]
	s_mov_b32 s14, 0x2d4ff71e
	s_mov_b32 s15, 0xbfa019f7
	v_fma_f64 v[20:21], v[20:21], v[23:24], v[20:21]
	v_fma_f64 v[18:19], v[18:19], v[23:24], v[18:19]
	v_fma_f64 v[10:11], v[2:3], v[12:13], -v[10:11]
	v_fma_f64 v[23:24], -v[20:21], v[20:21], v[14:15]
	v_add_f64 v[10:11], v[10:11], s[14:15]
	s_mov_b32 s14, 0x9f4e6907
	s_mov_b32 s15, 0x400385bd
	v_fma_f64 v[20:21], v[23:24], v[18:19], v[20:21]
	v_fma_f64 v[2:3], v[2:3], v[10:11], -v[12:13]
	v_fma_f64 v[10:11], -v[20:21], v[20:21], v[14:15]
	v_add_f64 v[2:3], v[2:3], s[14:15]
	v_fma_f64 v[10:11], v[10:11], v[18:19], v[20:21]
	v_add_f64 v[2:3], v[2:3], -v[12:13]
	v_mov_b32_e32 v12, 0xffffff80
	v_mov_b32_e32 v13, 0x260
	v_cndmask_b32_e32 v12, 0, v12, vcc
	v_cmp_class_f64_e32 vcc, v[14:15], v13
	v_ldexp_f64 v[10:11], v[10:11], v12
	v_mul_f64 v[2:3], v[2:3], 0.5
	v_cndmask_b32_e32 v11, v11, v15, vcc
	v_cndmask_b32_e32 v10, v10, v14, vcc
	v_div_scale_f64 v[12:13], s[14:15], v[10:11], v[10:11], v[2:3]
	v_div_scale_f64 v[20:21], vcc, v[2:3], v[10:11], v[2:3]
	v_rcp_f64_e32 v[14:15], v[12:13]
	v_fma_f64 v[18:19], -v[12:13], v[14:15], 1.0
	v_fma_f64 v[14:15], v[14:15], v[18:19], v[14:15]
	v_fma_f64 v[18:19], -v[12:13], v[14:15], 1.0
	v_fma_f64 v[14:15], v[14:15], v[18:19], v[14:15]
	v_mul_f64 v[18:19], v[20:21], v[14:15]
	v_fma_f64 v[12:13], -v[12:13], v[18:19], v[20:21]
	v_div_fmas_f64 v[12:13], v[12:13], v[14:15], v[18:19]
	v_div_fixup_f64 v[2:3], v[12:13], v[10:11], v[2:3]
.LBB0_15:
	s_or_b64 exec, exec, s[6:7]
.LBB0_16:
	s_or_b64 exec, exec, s[12:13]
.LBB0_17:
	s_or_b64 exec, exec, s[10:11]
	v_mov_b32_e32 v14, 0
	v_mov_b32_e32 v15, v14
	;; [unrolled: 1-line block ×6, first 2 shown]
.LBB0_18:
	s_or_b64 exec, exec, s[8:9]
	v_add_u32_e32 v23, 0x100, v22
	v_cmp_lt_i32_e32 vcc, v23, v4
	s_and_saveexec_b64 s[8:9], vcc
	s_cbranch_execz .LBB0_28
; %bb.19:
	s_waitcnt vmcnt(0) lgkmcnt(0)
	v_cmp_neq_f64_e32 vcc, 0, v[16:17]
	v_mov_b32_e32 v14, 0
	v_mov_b32_e32 v15, 0x7ff00000
	s_and_saveexec_b64 s[10:11], vcc
	s_cbranch_execz .LBB0_27
; %bb.20:
	v_cmp_ngt_f64_e32 vcc, 0, v[16:17]
	v_mov_b32_e32 v14, 0
	v_mov_b32_e32 v15, 0x7ff80000
	s_and_saveexec_b64 s[12:13], vcc
	s_cbranch_execz .LBB0_26
; %bb.21:
	v_cmp_ge_f64_e32 vcc, 2.0, v[16:17]
	s_and_saveexec_b64 s[6:7], vcc
	s_xor_b64 s[14:15], exec, s[6:7]
                                        ; implicit-def: $vgpr14_vgpr15
	s_cbranch_execz .LBB0_23
; %bb.22:
	v_fma_f64 v[14:15], v[16:17], v[16:17], -2.0
	v_mov_b32_e32 v18, 0xc384c2aa
	v_mov_b32_e32 v19, 0x3d27fb0a
	s_mov_b32 s7, 0x3ca3cee1
	s_mov_b32 s6, 0xe6a7fd77
	s_mov_b32 s16, 0xbf559e2b
	s_mov_b32 s17, 0x3fc3ab76
	s_mov_b32 s21, 0x3c7abc9e
	v_fma_f64 v[18:19], v[14:15], s[6:7], v[18:19]
	s_mov_b32 s7, 0xbca3cee1
	s_mov_b32 s20, 0x3b39803f
	v_fma_f64 v[20:21], v[14:15], v[18:19], s[6:7]
	s_mov_b32 s6, 0x47512144
	s_mov_b32 s7, 0x3da6c25c
	v_add_f64 v[20:21], v[20:21], s[6:7]
	s_mov_b32 s6, 0x67e58a13
	s_mov_b32 s7, 0x3e205c13
	v_fma_f64 v[18:19], v[14:15], v[20:21], -v[18:19]
	v_add_f64 v[18:19], v[18:19], s[6:7]
	s_mov_b32 s6, 0xe7f95efc
	s_mov_b32 s7, 0x3e9102bc
	v_fma_f64 v[20:21], v[14:15], v[18:19], -v[20:21]
	;; [unrolled: 4-line block ×7, first 2 shown]
	v_add_f64 v[14:15], v[14:15], s[6:7]
	s_mov_b32 s7, 0x3fe55555
	s_mov_b32 s6, 0x55555555
	v_add_f64 v[14:15], v[14:15], -v[18:19]
	v_mul_f64 v[18:19], v[16:17], 0.5
	v_frexp_mant_f64_e32 v[20:21], v[18:19]
	v_frexp_exp_i32_f64_e32 v24, v[18:19]
	v_cmp_gt_f64_e32 vcc, s[6:7], v[20:21]
	s_mov_b32 s6, 0x55555780
	v_cndmask_b32_e64 v25, 0, 1, vcc
	v_ldexp_f64 v[20:21], v[20:21], v25
	v_subbrev_co_u32_e32 v36, vcc, 0, v24, vcc
	v_add_f64 v[26:27], v[20:21], 1.0
	v_add_f64 v[24:25], v[20:21], -1.0
	v_add_f64 v[28:29], v[26:27], -1.0
	v_add_f64 v[20:21], v[20:21], -v[28:29]
	v_rcp_f64_e32 v[28:29], v[26:27]
	v_fma_f64 v[30:31], -v[26:27], v[28:29], 1.0
	v_fma_f64 v[28:29], v[30:31], v[28:29], v[28:29]
	v_fma_f64 v[30:31], -v[26:27], v[28:29], 1.0
	v_fma_f64 v[28:29], v[30:31], v[28:29], v[28:29]
	v_mul_f64 v[30:31], v[24:25], v[28:29]
	v_mul_f64 v[32:33], v[26:27], v[30:31]
	v_fma_f64 v[26:27], v[30:31], v[26:27], -v[32:33]
	v_fma_f64 v[20:21], v[30:31], v[20:21], v[26:27]
	v_add_f64 v[26:27], v[32:33], v[20:21]
	v_add_f64 v[34:35], v[24:25], -v[26:27]
	v_add_f64 v[32:33], v[26:27], -v[32:33]
	;; [unrolled: 1-line block ×5, first 2 shown]
	v_add_f64 v[20:21], v[20:21], v[24:25]
	v_add_f64 v[20:21], v[34:35], v[20:21]
	v_mul_f64 v[20:21], v[28:29], v[20:21]
	v_mov_b32_e32 v28, 0x6b47b09a
	v_mov_b32_e32 v29, 0x3fc38538
	v_add_f64 v[24:25], v[30:31], v[20:21]
	v_add_f64 v[26:27], v[24:25], -v[30:31]
	v_ldexp_f64 v[30:31], v[24:25], 1
	v_add_f64 v[20:21], v[20:21], -v[26:27]
	v_mul_f64 v[26:27], v[24:25], v[24:25]
	v_ldexp_f64 v[20:21], v[20:21], 1
	v_fma_f64 v[28:29], v[26:27], s[16:17], v[28:29]
	s_mov_b32 s16, 0xd7f4df2e
	s_mov_b32 s17, 0x3fc7474d
	v_mul_f64 v[24:25], v[24:25], v[26:27]
	v_fma_f64 v[28:29], v[26:27], v[28:29], s[16:17]
	s_mov_b32 s16, 0x16291751
	s_mov_b32 s17, 0x3fcc71c0
	v_fma_f64 v[28:29], v[26:27], v[28:29], s[16:17]
	s_mov_b32 s16, 0x9b27acf1
	s_mov_b32 s17, 0x3fd24924
	;; [unrolled: 3-line block ×5, first 2 shown]
	v_cmp_neq_f64_e32 vcc, s[6:7], v[18:19]
	v_cmp_neq_f64_e64 s[6:7], 0, v[18:19]
	v_mov_b32_e32 v19, 0xfff00000
	v_mul_f64 v[24:25], v[24:25], v[28:29]
	v_add_f64 v[26:27], v[30:31], v[24:25]
	v_add_f64 v[28:29], v[26:27], -v[30:31]
	v_add_f64 v[24:25], v[24:25], -v[28:29]
	v_add_f64 v[20:21], v[20:21], v[24:25]
	v_add_f64 v[24:25], v[26:27], v[20:21]
	v_add_f64 v[26:27], v[24:25], -v[26:27]
	v_add_f64 v[20:21], v[20:21], -v[26:27]
	v_cvt_f64_i32_e32 v[26:27], v36
	v_mul_f64 v[28:29], v[26:27], s[16:17]
	v_fma_f64 v[30:31], v[26:27], s[16:17], -v[28:29]
	s_mov_b32 s17, 0xbfe62e42
	v_fma_f64 v[26:27], v[26:27], s[20:21], v[30:31]
	s_mov_b32 s21, 0xbc7abc9e
	v_add_f64 v[30:31], v[28:29], v[26:27]
	v_add_f64 v[28:29], v[30:31], -v[28:29]
	v_add_f64 v[26:27], v[26:27], -v[28:29]
	v_add_f64 v[28:29], v[30:31], v[24:25]
	v_add_f64 v[32:33], v[28:29], -v[30:31]
	v_add_f64 v[34:35], v[28:29], -v[32:33]
	;; [unrolled: 1-line block ×4, first 2 shown]
	v_add_f64 v[24:25], v[24:25], v[30:31]
	v_add_f64 v[30:31], v[26:27], v[20:21]
	v_add_f64 v[32:33], v[30:31], -v[26:27]
	v_add_f64 v[24:25], v[30:31], v[24:25]
	v_add_f64 v[34:35], v[30:31], -v[32:33]
	v_add_f64 v[20:21], v[20:21], -v[32:33]
	;; [unrolled: 1-line block ×3, first 2 shown]
	v_add_f64 v[20:21], v[20:21], v[26:27]
	v_add_f64 v[26:27], v[28:29], v[24:25]
	v_add_f64 v[28:29], v[26:27], -v[28:29]
	v_add_f64 v[24:25], v[24:25], -v[28:29]
	v_add_f64 v[20:21], v[20:21], v[24:25]
	v_mov_b32_e32 v24, 0x7ff00000
	v_add_f64 v[20:21], v[26:27], v[20:21]
	v_mov_b32_e32 v26, 0xfca7ab0c
	v_mov_b32_e32 v27, 0x3e928af3
	v_cndmask_b32_e32 v21, v24, v21, vcc
	s_and_b64 vcc, s[6:7], vcc
	v_cndmask_b32_e64 v19, v19, v21, s[6:7]
	s_mov_b32 s6, 0x652b82fe
	s_mov_b32 s7, 0x3ff71547
	v_cndmask_b32_e32 v18, 0, v20, vcc
	v_mul_f64 v[20:21], v[16:17], s[6:7]
	s_mov_b32 s6, 0x6a5dcb37
	s_mov_b32 s7, 0x3e5ade15
	v_rndne_f64_e32 v[20:21], v[20:21]
	v_fma_f64 v[24:25], v[20:21], s[16:17], v[16:17]
	v_fma_f64 v[16:17], v[16:17], 0.5, -2.0
	v_fma_f64 v[24:25], v[20:21], s[20:21], v[24:25]
	v_cvt_i32_f64_e32 v20, v[20:21]
	v_fma_f64 v[26:27], v[24:25], s[6:7], v[26:27]
	s_mov_b32 s6, 0x623fde64
	s_mov_b32 s7, 0x3ec71dee
	v_fma_f64 v[26:27], v[24:25], v[26:27], s[6:7]
	s_mov_b32 s6, 0x7c89e6b0
	s_mov_b32 s7, 0x3efa0199
	;; [unrolled: 3-line block ×9, first 2 shown]
	v_fma_f64 v[26:27], v[24:25], v[26:27], 1.0
	v_fma_f64 v[24:25], v[24:25], v[26:27], 1.0
	v_ldexp_f64 v[20:21], v[24:25], v20
	v_mov_b32_e32 v24, 0x977da589
	v_mov_b32_e32 v25, 0x3c833362
	v_fma_f64 v[24:25], v[16:17], s[6:7], v[24:25]
	s_mov_b32 s7, 0x3c545cb7
	v_fma_f64 v[26:27], v[16:17], v[24:25], s[6:7]
	s_mov_b32 s6, 0x721ebbb4
	s_mov_b32 s7, 0xbcb184eb
	v_add_f64 v[26:27], v[26:27], s[6:7]
	s_mov_b32 s6, 0x93f65eba
	s_mov_b32 s7, 0x3cdee6d8
	v_fma_f64 v[24:25], v[16:17], v[26:27], -v[24:25]
	v_add_f64 v[24:25], v[24:25], s[6:7]
	s_mov_b32 s6, 0xc297fbeb
	s_mov_b32 s7, 0xbd0a5022
	v_fma_f64 v[26:27], v[16:17], v[24:25], -v[26:27]
	;; [unrolled: 4-line block ×27, first 2 shown]
	v_add_f64 v[16:17], v[16:17], s[6:7]
	v_add_f64 v[16:17], v[16:17], -v[24:25]
	v_mul_f64 v[16:17], v[16:17], 0.5
	v_mul_f64 v[16:17], v[20:21], v[16:17]
	v_mul_f64 v[16:17], v[18:19], v[16:17]
	v_fma_f64 v[14:15], v[14:15], 0.5, -v[16:17]
                                        ; implicit-def: $vgpr16_vgpr17
	v_mul_f64 v[14:15], v[20:21], v[14:15]
.LBB0_23:
	s_andn2_saveexec_b64 s[6:7], s[14:15]
	s_cbranch_execz .LBB0_25
; %bb.24:
	s_mov_b32 s14, 0
	s_mov_b32 s15, 0x40200000
	v_div_scale_f64 v[14:15], s[16:17], v[16:17], v[16:17], s[14:15]
	v_rcp_f64_e32 v[18:19], v[14:15]
	v_fma_f64 v[20:21], -v[14:15], v[18:19], 1.0
	v_fma_f64 v[18:19], v[18:19], v[20:21], v[18:19]
	v_div_scale_f64 v[20:21], vcc, s[14:15], v[16:17], s[14:15]
	v_fma_f64 v[24:25], -v[14:15], v[18:19], 1.0
	v_fma_f64 v[18:19], v[18:19], v[24:25], v[18:19]
	v_mul_f64 v[24:25], v[20:21], v[18:19]
	v_fma_f64 v[14:15], -v[14:15], v[24:25], v[20:21]
	v_div_fmas_f64 v[14:15], v[14:15], v[18:19], v[24:25]
	v_mov_b32_e32 v18, 0x93812603
	v_mov_b32_e32 v19, 0xbc72fecc
	;; [unrolled: 1-line block ×3, first 2 shown]
	v_div_fixup_f64 v[14:15], v[14:15], v[16:17], s[14:15]
	s_mov_b32 s15, 0x3c5871a5
	s_mov_b32 s14, 0xcf8c9ee1
	v_add_f64 v[14:15], v[14:15], -2.0
	v_fma_f64 v[18:19], v[14:15], s[14:15], v[18:19]
	s_mov_b32 s15, 0xbc5871a5
	v_fma_f64 v[20:21], v[14:15], v[18:19], s[14:15]
	s_mov_b32 s14, 0x41a8cdf4
	s_mov_b32 s15, 0x3c8e092e
	v_add_f64 v[20:21], v[20:21], s[14:15]
	s_mov_b32 s14, 0x74d77641
	s_mov_b32 s15, 0xbca82f94
	v_fma_f64 v[18:19], v[14:15], v[20:21], -v[18:19]
	v_add_f64 v[18:19], v[18:19], s[14:15]
	s_mov_b32 s14, 0x6b94785b
	s_mov_b32 s15, 0x3cc3dbf9
	v_fma_f64 v[20:21], v[14:15], v[18:19], -v[20:21]
	;; [unrolled: 4-line block ×17, first 2 shown]
	v_add_f64 v[18:19], v[18:19], s[14:15]
	s_mov_b32 s14, 0
	s_brev_b32 s15, 8
	v_cmp_gt_f64_e32 vcc, s[14:15], v[16:17]
	s_mov_b32 s14, 0xcc7470a9
	s_mov_b32 s15, 0x3eed413f
	v_fma_f64 v[20:21], v[14:15], v[18:19], -v[20:21]
	v_cndmask_b32_e32 v24, 0, v24, vcc
	v_ldexp_f64 v[16:17], v[16:17], v24
	v_add_f64 v[20:21], v[20:21], s[14:15]
	s_mov_b32 s14, 0xe7889f42
	s_mov_b32 s15, 0xbf20d797
	v_rsq_f64_e32 v[24:25], v[16:17]
	v_fma_f64 v[18:19], v[14:15], v[20:21], -v[18:19]
	v_add_f64 v[18:19], v[18:19], s[14:15]
	s_mov_b32 s14, 0xfca79342
	s_mov_b32 s15, 0x3f59b891
	v_mul_f64 v[26:27], v[16:17], v[24:25]
	v_mul_f64 v[24:25], v[24:25], 0.5
	v_fma_f64 v[20:21], v[14:15], v[18:19], -v[20:21]
	v_fma_f64 v[28:29], -v[24:25], v[26:27], 0.5
	v_add_f64 v[20:21], v[20:21], s[14:15]
	s_mov_b32 s14, 0x2d4ff71e
	s_mov_b32 s15, 0xbfa019f7
	v_fma_f64 v[26:27], v[26:27], v[28:29], v[26:27]
	v_fma_f64 v[24:25], v[24:25], v[28:29], v[24:25]
	v_fma_f64 v[18:19], v[14:15], v[20:21], -v[18:19]
	v_fma_f64 v[28:29], -v[26:27], v[26:27], v[16:17]
	v_add_f64 v[18:19], v[18:19], s[14:15]
	s_mov_b32 s14, 0x9f4e6907
	s_mov_b32 s15, 0x400385bd
	v_fma_f64 v[26:27], v[28:29], v[24:25], v[26:27]
	v_fma_f64 v[14:15], v[14:15], v[18:19], -v[20:21]
	v_fma_f64 v[18:19], -v[26:27], v[26:27], v[16:17]
	v_add_f64 v[14:15], v[14:15], s[14:15]
	v_fma_f64 v[18:19], v[18:19], v[24:25], v[26:27]
	v_add_f64 v[14:15], v[14:15], -v[20:21]
	v_mov_b32_e32 v20, 0xffffff80
	v_mov_b32_e32 v21, 0x260
	v_cndmask_b32_e32 v20, 0, v20, vcc
	v_cmp_class_f64_e32 vcc, v[16:17], v21
	v_ldexp_f64 v[18:19], v[18:19], v20
	v_mul_f64 v[14:15], v[14:15], 0.5
	v_cndmask_b32_e32 v17, v19, v17, vcc
	v_cndmask_b32_e32 v16, v18, v16, vcc
	v_div_scale_f64 v[18:19], s[14:15], v[16:17], v[16:17], v[14:15]
	v_div_scale_f64 v[26:27], vcc, v[14:15], v[16:17], v[14:15]
	v_rcp_f64_e32 v[20:21], v[18:19]
	v_fma_f64 v[24:25], -v[18:19], v[20:21], 1.0
	v_fma_f64 v[20:21], v[20:21], v[24:25], v[20:21]
	v_fma_f64 v[24:25], -v[18:19], v[20:21], 1.0
	v_fma_f64 v[20:21], v[20:21], v[24:25], v[20:21]
	v_mul_f64 v[24:25], v[26:27], v[20:21]
	v_fma_f64 v[18:19], -v[18:19], v[24:25], v[26:27]
	v_div_fmas_f64 v[18:19], v[18:19], v[20:21], v[24:25]
	v_div_fixup_f64 v[14:15], v[18:19], v[16:17], v[14:15]
.LBB0_25:
	s_or_b64 exec, exec, s[6:7]
.LBB0_26:
	s_or_b64 exec, exec, s[12:13]
.LBB0_27:
	s_or_b64 exec, exec, s[10:11]
.LBB0_28:
	s_or_b64 exec, exec, s[8:9]
	s_waitcnt vmcnt(0) lgkmcnt(0)
	v_add_u32_e32 v16, 0x200, v22
	v_cmp_lt_i32_e32 vcc, v16, v4
	s_and_saveexec_b64 s[8:9], vcc
	s_cbranch_execz .LBB0_38
; %bb.29:
	v_cmp_neq_f64_e32 vcc, 0, v[8:9]
	v_mov_b32_e32 v12, 0
	v_mov_b32_e32 v13, 0x7ff00000
	s_and_saveexec_b64 s[10:11], vcc
	s_cbranch_execz .LBB0_37
; %bb.30:
	v_cmp_ngt_f64_e32 vcc, 0, v[8:9]
	v_mov_b32_e32 v12, 0
	v_mov_b32_e32 v13, 0x7ff80000
	s_and_saveexec_b64 s[12:13], vcc
	s_cbranch_execz .LBB0_36
; %bb.31:
	v_cmp_ge_f64_e32 vcc, 2.0, v[8:9]
	s_and_saveexec_b64 s[6:7], vcc
	s_xor_b64 s[14:15], exec, s[6:7]
                                        ; implicit-def: $vgpr12_vgpr13
	s_cbranch_execz .LBB0_33
; %bb.32:
	v_fma_f64 v[12:13], v[8:9], v[8:9], -2.0
	v_mov_b32_e32 v16, 0xc384c2aa
	v_mov_b32_e32 v17, 0x3d27fb0a
	s_mov_b32 s7, 0x3ca3cee1
	s_mov_b32 s6, 0xe6a7fd77
	;; [unrolled: 1-line block ×5, first 2 shown]
	v_fma_f64 v[16:17], v[12:13], s[6:7], v[16:17]
	s_mov_b32 s7, 0xbca3cee1
	s_mov_b32 s20, 0x3b39803f
	v_fma_f64 v[18:19], v[12:13], v[16:17], s[6:7]
	s_mov_b32 s6, 0x47512144
	s_mov_b32 s7, 0x3da6c25c
	v_add_f64 v[18:19], v[18:19], s[6:7]
	s_mov_b32 s6, 0x67e58a13
	s_mov_b32 s7, 0x3e205c13
	v_fma_f64 v[16:17], v[12:13], v[18:19], -v[16:17]
	v_add_f64 v[16:17], v[16:17], s[6:7]
	s_mov_b32 s6, 0xe7f95efc
	s_mov_b32 s7, 0x3e9102bc
	v_fma_f64 v[18:19], v[12:13], v[16:17], -v[18:19]
	;; [unrolled: 4-line block ×7, first 2 shown]
	v_add_f64 v[12:13], v[12:13], s[6:7]
	s_mov_b32 s7, 0x3fe55555
	s_mov_b32 s6, 0x55555555
	v_add_f64 v[12:13], v[12:13], -v[16:17]
	v_mul_f64 v[16:17], v[8:9], 0.5
	v_frexp_mant_f64_e32 v[18:19], v[16:17]
	v_frexp_exp_i32_f64_e32 v20, v[16:17]
	v_cmp_gt_f64_e32 vcc, s[6:7], v[18:19]
	s_mov_b32 s6, 0x55555780
	v_cndmask_b32_e64 v21, 0, 1, vcc
	v_ldexp_f64 v[18:19], v[18:19], v21
	v_subbrev_co_u32_e32 v34, vcc, 0, v20, vcc
	v_add_f64 v[24:25], v[18:19], 1.0
	v_add_f64 v[20:21], v[18:19], -1.0
	v_add_f64 v[26:27], v[24:25], -1.0
	v_add_f64 v[18:19], v[18:19], -v[26:27]
	v_rcp_f64_e32 v[26:27], v[24:25]
	v_fma_f64 v[28:29], -v[24:25], v[26:27], 1.0
	v_fma_f64 v[26:27], v[28:29], v[26:27], v[26:27]
	v_fma_f64 v[28:29], -v[24:25], v[26:27], 1.0
	v_fma_f64 v[26:27], v[28:29], v[26:27], v[26:27]
	v_mul_f64 v[28:29], v[20:21], v[26:27]
	v_mul_f64 v[30:31], v[24:25], v[28:29]
	v_fma_f64 v[24:25], v[28:29], v[24:25], -v[30:31]
	v_fma_f64 v[18:19], v[28:29], v[18:19], v[24:25]
	v_add_f64 v[24:25], v[30:31], v[18:19]
	v_add_f64 v[32:33], v[20:21], -v[24:25]
	v_add_f64 v[30:31], v[24:25], -v[30:31]
	;; [unrolled: 1-line block ×5, first 2 shown]
	v_add_f64 v[18:19], v[18:19], v[20:21]
	v_add_f64 v[18:19], v[32:33], v[18:19]
	v_mul_f64 v[18:19], v[26:27], v[18:19]
	v_mov_b32_e32 v26, 0x6b47b09a
	v_mov_b32_e32 v27, 0x3fc38538
	v_add_f64 v[20:21], v[28:29], v[18:19]
	v_add_f64 v[24:25], v[20:21], -v[28:29]
	v_ldexp_f64 v[28:29], v[20:21], 1
	v_add_f64 v[18:19], v[18:19], -v[24:25]
	v_mul_f64 v[24:25], v[20:21], v[20:21]
	v_ldexp_f64 v[18:19], v[18:19], 1
	v_fma_f64 v[26:27], v[24:25], s[16:17], v[26:27]
	s_mov_b32 s16, 0xd7f4df2e
	s_mov_b32 s17, 0x3fc7474d
	v_mul_f64 v[20:21], v[20:21], v[24:25]
	v_fma_f64 v[26:27], v[24:25], v[26:27], s[16:17]
	s_mov_b32 s16, 0x16291751
	s_mov_b32 s17, 0x3fcc71c0
	v_fma_f64 v[26:27], v[24:25], v[26:27], s[16:17]
	s_mov_b32 s16, 0x9b27acf1
	s_mov_b32 s17, 0x3fd24924
	;; [unrolled: 3-line block ×5, first 2 shown]
	v_cmp_neq_f64_e32 vcc, s[6:7], v[16:17]
	v_cmp_neq_f64_e64 s[6:7], 0, v[16:17]
	v_mov_b32_e32 v17, 0xfff00000
	v_mul_f64 v[20:21], v[20:21], v[26:27]
	v_add_f64 v[24:25], v[28:29], v[20:21]
	v_add_f64 v[26:27], v[24:25], -v[28:29]
	v_add_f64 v[20:21], v[20:21], -v[26:27]
	v_add_f64 v[18:19], v[18:19], v[20:21]
	v_add_f64 v[20:21], v[24:25], v[18:19]
	v_add_f64 v[24:25], v[20:21], -v[24:25]
	v_add_f64 v[18:19], v[18:19], -v[24:25]
	v_cvt_f64_i32_e32 v[24:25], v34
	v_mul_f64 v[26:27], v[24:25], s[16:17]
	v_fma_f64 v[28:29], v[24:25], s[16:17], -v[26:27]
	s_mov_b32 s17, 0xbfe62e42
	v_fma_f64 v[24:25], v[24:25], s[20:21], v[28:29]
	s_mov_b32 s21, 0xbc7abc9e
	v_add_f64 v[28:29], v[26:27], v[24:25]
	v_add_f64 v[26:27], v[28:29], -v[26:27]
	v_add_f64 v[24:25], v[24:25], -v[26:27]
	v_add_f64 v[26:27], v[28:29], v[20:21]
	v_add_f64 v[30:31], v[26:27], -v[28:29]
	v_add_f64 v[32:33], v[26:27], -v[30:31]
	;; [unrolled: 1-line block ×4, first 2 shown]
	v_add_f64 v[20:21], v[20:21], v[28:29]
	v_add_f64 v[28:29], v[24:25], v[18:19]
	v_add_f64 v[30:31], v[28:29], -v[24:25]
	v_add_f64 v[20:21], v[28:29], v[20:21]
	v_add_f64 v[32:33], v[28:29], -v[30:31]
	v_add_f64 v[18:19], v[18:19], -v[30:31]
	;; [unrolled: 1-line block ×3, first 2 shown]
	v_add_f64 v[18:19], v[18:19], v[24:25]
	v_add_f64 v[24:25], v[26:27], v[20:21]
	v_add_f64 v[26:27], v[24:25], -v[26:27]
	v_add_f64 v[20:21], v[20:21], -v[26:27]
	v_add_f64 v[18:19], v[18:19], v[20:21]
	v_mov_b32_e32 v20, 0x7ff00000
	v_add_f64 v[18:19], v[24:25], v[18:19]
	v_mov_b32_e32 v24, 0xfca7ab0c
	v_mov_b32_e32 v25, 0x3e928af3
	v_cndmask_b32_e32 v19, v20, v19, vcc
	s_and_b64 vcc, s[6:7], vcc
	v_cndmask_b32_e64 v17, v17, v19, s[6:7]
	s_mov_b32 s6, 0x652b82fe
	s_mov_b32 s7, 0x3ff71547
	v_cndmask_b32_e32 v16, 0, v18, vcc
	v_mul_f64 v[18:19], v[8:9], s[6:7]
	s_mov_b32 s6, 0x6a5dcb37
	s_mov_b32 s7, 0x3e5ade15
	v_rndne_f64_e32 v[18:19], v[18:19]
	v_fma_f64 v[20:21], v[18:19], s[16:17], v[8:9]
	v_fma_f64 v[8:9], v[8:9], 0.5, -2.0
	v_fma_f64 v[20:21], v[18:19], s[20:21], v[20:21]
	v_cvt_i32_f64_e32 v18, v[18:19]
	v_fma_f64 v[24:25], v[20:21], s[6:7], v[24:25]
	s_mov_b32 s6, 0x623fde64
	s_mov_b32 s7, 0x3ec71dee
	v_fma_f64 v[24:25], v[20:21], v[24:25], s[6:7]
	s_mov_b32 s6, 0x7c89e6b0
	s_mov_b32 s7, 0x3efa0199
	;; [unrolled: 3-line block ×9, first 2 shown]
	v_fma_f64 v[24:25], v[20:21], v[24:25], 1.0
	v_fma_f64 v[20:21], v[20:21], v[24:25], 1.0
	v_ldexp_f64 v[18:19], v[20:21], v18
	v_mov_b32_e32 v20, 0x977da589
	v_mov_b32_e32 v21, 0x3c833362
	v_fma_f64 v[20:21], v[8:9], s[6:7], v[20:21]
	s_mov_b32 s7, 0x3c545cb7
	v_fma_f64 v[24:25], v[8:9], v[20:21], s[6:7]
	s_mov_b32 s6, 0x721ebbb4
	s_mov_b32 s7, 0xbcb184eb
	v_add_f64 v[24:25], v[24:25], s[6:7]
	s_mov_b32 s6, 0x93f65eba
	s_mov_b32 s7, 0x3cdee6d8
	v_fma_f64 v[20:21], v[8:9], v[24:25], -v[20:21]
	v_add_f64 v[20:21], v[20:21], s[6:7]
	s_mov_b32 s6, 0xc297fbeb
	s_mov_b32 s7, 0xbd0a5022
	v_fma_f64 v[24:25], v[8:9], v[20:21], -v[24:25]
	;; [unrolled: 4-line block ×27, first 2 shown]
	v_add_f64 v[8:9], v[8:9], s[6:7]
	v_add_f64 v[8:9], v[8:9], -v[20:21]
	v_mul_f64 v[8:9], v[8:9], 0.5
	v_mul_f64 v[8:9], v[18:19], v[8:9]
	v_mul_f64 v[8:9], v[16:17], v[8:9]
	v_fma_f64 v[8:9], v[12:13], 0.5, -v[8:9]
	v_mul_f64 v[12:13], v[18:19], v[8:9]
                                        ; implicit-def: $vgpr8_vgpr9
.LBB0_33:
	s_andn2_saveexec_b64 s[6:7], s[14:15]
	s_cbranch_execz .LBB0_35
; %bb.34:
	s_mov_b32 s14, 0
	s_mov_b32 s15, 0x40200000
	v_div_scale_f64 v[12:13], s[16:17], v[8:9], v[8:9], s[14:15]
	v_rcp_f64_e32 v[16:17], v[12:13]
	v_fma_f64 v[18:19], -v[12:13], v[16:17], 1.0
	v_fma_f64 v[16:17], v[16:17], v[18:19], v[16:17]
	v_div_scale_f64 v[18:19], vcc, s[14:15], v[8:9], s[14:15]
	v_fma_f64 v[20:21], -v[12:13], v[16:17], 1.0
	v_fma_f64 v[16:17], v[16:17], v[20:21], v[16:17]
	v_mul_f64 v[20:21], v[18:19], v[16:17]
	v_fma_f64 v[12:13], -v[12:13], v[20:21], v[18:19]
	v_div_fmas_f64 v[12:13], v[12:13], v[16:17], v[20:21]
	v_mov_b32_e32 v16, 0x93812603
	v_mov_b32_e32 v17, 0xbc72fecc
	;; [unrolled: 1-line block ×3, first 2 shown]
	v_div_fixup_f64 v[12:13], v[12:13], v[8:9], s[14:15]
	s_mov_b32 s15, 0x3c5871a5
	s_mov_b32 s14, 0xcf8c9ee1
	v_add_f64 v[12:13], v[12:13], -2.0
	v_fma_f64 v[16:17], v[12:13], s[14:15], v[16:17]
	s_mov_b32 s15, 0xbc5871a5
	v_fma_f64 v[18:19], v[12:13], v[16:17], s[14:15]
	s_mov_b32 s14, 0x41a8cdf4
	s_mov_b32 s15, 0x3c8e092e
	v_add_f64 v[18:19], v[18:19], s[14:15]
	s_mov_b32 s14, 0x74d77641
	s_mov_b32 s15, 0xbca82f94
	v_fma_f64 v[16:17], v[12:13], v[18:19], -v[16:17]
	v_add_f64 v[16:17], v[16:17], s[14:15]
	s_mov_b32 s14, 0x6b94785b
	s_mov_b32 s15, 0x3cc3dbf9
	v_fma_f64 v[18:19], v[12:13], v[16:17], -v[18:19]
	;; [unrolled: 4-line block ×17, first 2 shown]
	v_add_f64 v[16:17], v[16:17], s[14:15]
	s_mov_b32 s14, 0
	s_brev_b32 s15, 8
	v_cmp_gt_f64_e32 vcc, s[14:15], v[8:9]
	s_mov_b32 s14, 0xcc7470a9
	s_mov_b32 s15, 0x3eed413f
	v_fma_f64 v[18:19], v[12:13], v[16:17], -v[18:19]
	v_cndmask_b32_e32 v20, 0, v20, vcc
	v_ldexp_f64 v[8:9], v[8:9], v20
	v_add_f64 v[18:19], v[18:19], s[14:15]
	s_mov_b32 s14, 0xe7889f42
	s_mov_b32 s15, 0xbf20d797
	v_rsq_f64_e32 v[20:21], v[8:9]
	v_fma_f64 v[16:17], v[12:13], v[18:19], -v[16:17]
	v_add_f64 v[16:17], v[16:17], s[14:15]
	s_mov_b32 s14, 0xfca79342
	s_mov_b32 s15, 0x3f59b891
	v_mul_f64 v[24:25], v[8:9], v[20:21]
	v_mul_f64 v[20:21], v[20:21], 0.5
	v_fma_f64 v[18:19], v[12:13], v[16:17], -v[18:19]
	v_fma_f64 v[26:27], -v[20:21], v[24:25], 0.5
	v_add_f64 v[18:19], v[18:19], s[14:15]
	s_mov_b32 s14, 0x2d4ff71e
	s_mov_b32 s15, 0xbfa019f7
	v_fma_f64 v[24:25], v[24:25], v[26:27], v[24:25]
	v_fma_f64 v[20:21], v[20:21], v[26:27], v[20:21]
	v_fma_f64 v[16:17], v[12:13], v[18:19], -v[16:17]
	v_fma_f64 v[26:27], -v[24:25], v[24:25], v[8:9]
	v_add_f64 v[16:17], v[16:17], s[14:15]
	s_mov_b32 s14, 0x9f4e6907
	s_mov_b32 s15, 0x400385bd
	v_fma_f64 v[24:25], v[26:27], v[20:21], v[24:25]
	v_fma_f64 v[12:13], v[12:13], v[16:17], -v[18:19]
	v_fma_f64 v[16:17], -v[24:25], v[24:25], v[8:9]
	v_add_f64 v[12:13], v[12:13], s[14:15]
	v_fma_f64 v[16:17], v[16:17], v[20:21], v[24:25]
	v_add_f64 v[12:13], v[12:13], -v[18:19]
	v_mov_b32_e32 v18, 0xffffff80
	v_mov_b32_e32 v19, 0x260
	v_cndmask_b32_e32 v18, 0, v18, vcc
	v_cmp_class_f64_e32 vcc, v[8:9], v19
	v_ldexp_f64 v[16:17], v[16:17], v18
	v_mul_f64 v[12:13], v[12:13], 0.5
	v_cndmask_b32_e32 v9, v17, v9, vcc
	v_cndmask_b32_e32 v8, v16, v8, vcc
	v_div_scale_f64 v[16:17], s[14:15], v[8:9], v[8:9], v[12:13]
	v_div_scale_f64 v[24:25], vcc, v[12:13], v[8:9], v[12:13]
	v_rcp_f64_e32 v[18:19], v[16:17]
	v_fma_f64 v[20:21], -v[16:17], v[18:19], 1.0
	v_fma_f64 v[18:19], v[18:19], v[20:21], v[18:19]
	v_fma_f64 v[20:21], -v[16:17], v[18:19], 1.0
	v_fma_f64 v[18:19], v[18:19], v[20:21], v[18:19]
	v_mul_f64 v[20:21], v[24:25], v[18:19]
	v_fma_f64 v[16:17], -v[16:17], v[20:21], v[24:25]
	v_div_fmas_f64 v[16:17], v[16:17], v[18:19], v[20:21]
	v_div_fixup_f64 v[12:13], v[16:17], v[8:9], v[12:13]
.LBB0_35:
	s_or_b64 exec, exec, s[6:7]
.LBB0_36:
	s_or_b64 exec, exec, s[12:13]
.LBB0_37:
	s_or_b64 exec, exec, s[10:11]
.LBB0_38:
	s_or_b64 exec, exec, s[8:9]
	v_add_u32_e32 v8, 0x300, v22
	v_cmp_lt_i32_e32 vcc, v8, v4
	s_and_saveexec_b64 s[8:9], vcc
	s_cbranch_execnz .LBB0_44
; %bb.39:
	s_or_b64 exec, exec, s[8:9]
	s_and_saveexec_b64 s[6:7], s[4:5]
	s_xor_b64 s[4:5], exec, s[6:7]
	s_cbranch_execnz .LBB0_53
.LBB0_40:
	s_or_b64 exec, exec, s[4:5]
	v_cmp_lt_i32_e32 vcc, v22, v4
	s_and_saveexec_b64 s[4:5], vcc
	s_cbranch_execnz .LBB0_54
.LBB0_41:
	s_or_b64 exec, exec, s[4:5]
	v_cmp_lt_i32_e32 vcc, v22, v4
	s_and_saveexec_b64 s[4:5], vcc
	s_cbranch_execnz .LBB0_55
.LBB0_42:
	s_or_b64 exec, exec, s[4:5]
	v_cmp_lt_i32_e32 vcc, v22, v4
	s_and_saveexec_b64 s[4:5], vcc
	s_cbranch_execnz .LBB0_56
.LBB0_43:
	s_or_b64 exec, exec, s[4:5]
	s_waitcnt vmcnt(0) lgkmcnt(0)
	s_setpc_b64 s[30:31]
.LBB0_44:
	v_cmp_neq_f64_e32 vcc, 0, v[6:7]
	v_mov_b32_e32 v10, 0
	v_mov_b32_e32 v11, 0x7ff00000
	s_and_saveexec_b64 s[10:11], vcc
	s_cbranch_execz .LBB0_52
; %bb.45:
	v_cmp_ngt_f64_e32 vcc, 0, v[6:7]
	v_mov_b32_e32 v10, 0
	v_mov_b32_e32 v11, 0x7ff80000
	s_and_saveexec_b64 s[12:13], vcc
	s_cbranch_execz .LBB0_51
; %bb.46:
	v_cmp_ge_f64_e32 vcc, 2.0, v[6:7]
	s_and_saveexec_b64 s[6:7], vcc
	s_xor_b64 s[14:15], exec, s[6:7]
                                        ; implicit-def: $vgpr10_vgpr11
	s_cbranch_execz .LBB0_48
; %bb.47:
	v_fma_f64 v[8:9], v[6:7], v[6:7], -2.0
	v_mov_b32_e32 v10, 0xc384c2aa
	v_mov_b32_e32 v11, 0x3d27fb0a
	s_mov_b32 s7, 0x3ca3cee1
	s_mov_b32 s6, 0xe6a7fd77
	;; [unrolled: 1-line block ×5, first 2 shown]
	v_fma_f64 v[10:11], v[8:9], s[6:7], v[10:11]
	s_mov_b32 s7, 0xbca3cee1
	s_mov_b32 s20, 0x3b39803f
	v_fma_f64 v[16:17], v[8:9], v[10:11], s[6:7]
	s_mov_b32 s6, 0x47512144
	s_mov_b32 s7, 0x3da6c25c
	v_add_f64 v[16:17], v[16:17], s[6:7]
	s_mov_b32 s6, 0x67e58a13
	s_mov_b32 s7, 0x3e205c13
	v_fma_f64 v[10:11], v[8:9], v[16:17], -v[10:11]
	v_add_f64 v[10:11], v[10:11], s[6:7]
	s_mov_b32 s6, 0xe7f95efc
	s_mov_b32 s7, 0x3e9102bc
	v_fma_f64 v[16:17], v[8:9], v[10:11], -v[16:17]
	;; [unrolled: 4-line block ×7, first 2 shown]
	v_add_f64 v[8:9], v[8:9], s[6:7]
	s_mov_b32 s7, 0x3fe55555
	s_mov_b32 s6, 0x55555555
	v_add_f64 v[8:9], v[8:9], -v[10:11]
	v_mul_f64 v[10:11], v[6:7], 0.5
	v_frexp_mant_f64_e32 v[16:17], v[10:11]
	v_frexp_exp_i32_f64_e32 v18, v[10:11]
	v_cmp_gt_f64_e32 vcc, s[6:7], v[16:17]
	s_mov_b32 s6, 0x55555780
	v_cndmask_b32_e64 v19, 0, 1, vcc
	v_ldexp_f64 v[16:17], v[16:17], v19
	v_subbrev_co_u32_e32 v32, vcc, 0, v18, vcc
	v_add_f64 v[20:21], v[16:17], 1.0
	v_add_f64 v[18:19], v[16:17], -1.0
	v_add_f64 v[24:25], v[20:21], -1.0
	v_add_f64 v[16:17], v[16:17], -v[24:25]
	v_rcp_f64_e32 v[24:25], v[20:21]
	v_fma_f64 v[26:27], -v[20:21], v[24:25], 1.0
	v_fma_f64 v[24:25], v[26:27], v[24:25], v[24:25]
	v_fma_f64 v[26:27], -v[20:21], v[24:25], 1.0
	v_fma_f64 v[24:25], v[26:27], v[24:25], v[24:25]
	v_mul_f64 v[26:27], v[18:19], v[24:25]
	v_mul_f64 v[28:29], v[20:21], v[26:27]
	v_fma_f64 v[20:21], v[26:27], v[20:21], -v[28:29]
	v_fma_f64 v[16:17], v[26:27], v[16:17], v[20:21]
	v_add_f64 v[20:21], v[28:29], v[16:17]
	v_add_f64 v[30:31], v[18:19], -v[20:21]
	v_add_f64 v[28:29], v[20:21], -v[28:29]
	;; [unrolled: 1-line block ×5, first 2 shown]
	v_add_f64 v[16:17], v[16:17], v[18:19]
	v_add_f64 v[16:17], v[30:31], v[16:17]
	v_mul_f64 v[16:17], v[24:25], v[16:17]
	v_mov_b32_e32 v24, 0x6b47b09a
	v_mov_b32_e32 v25, 0x3fc38538
	v_add_f64 v[18:19], v[26:27], v[16:17]
	v_add_f64 v[20:21], v[18:19], -v[26:27]
	v_ldexp_f64 v[26:27], v[18:19], 1
	v_add_f64 v[16:17], v[16:17], -v[20:21]
	v_mul_f64 v[20:21], v[18:19], v[18:19]
	v_ldexp_f64 v[16:17], v[16:17], 1
	v_fma_f64 v[24:25], v[20:21], s[16:17], v[24:25]
	s_mov_b32 s16, 0xd7f4df2e
	s_mov_b32 s17, 0x3fc7474d
	v_mul_f64 v[18:19], v[18:19], v[20:21]
	v_fma_f64 v[24:25], v[20:21], v[24:25], s[16:17]
	s_mov_b32 s16, 0x16291751
	s_mov_b32 s17, 0x3fcc71c0
	v_fma_f64 v[24:25], v[20:21], v[24:25], s[16:17]
	s_mov_b32 s16, 0x9b27acf1
	s_mov_b32 s17, 0x3fd24924
	v_fma_f64 v[24:25], v[20:21], v[24:25], s[16:17]
	s_mov_b32 s16, 0x998ef7b6
	s_mov_b32 s17, 0x3fd99999
	v_fma_f64 v[24:25], v[20:21], v[24:25], s[16:17]
	s_mov_b32 s17, 0x3fe62e42
	s_mov_b32 s16, 0xfefa39ef
	v_fma_f64 v[24:25], v[20:21], v[24:25], s[6:7]
	s_mov_b32 s6, 0
	s_mov_b32 s7, 0x7ff00000
	v_cmp_neq_f64_e32 vcc, s[6:7], v[10:11]
	v_cmp_neq_f64_e64 s[6:7], 0, v[10:11]
	v_mov_b32_e32 v11, 0xfff00000
	v_mul_f64 v[18:19], v[18:19], v[24:25]
	v_add_f64 v[20:21], v[26:27], v[18:19]
	v_add_f64 v[24:25], v[20:21], -v[26:27]
	v_add_f64 v[18:19], v[18:19], -v[24:25]
	v_add_f64 v[16:17], v[16:17], v[18:19]
	v_add_f64 v[18:19], v[20:21], v[16:17]
	v_add_f64 v[20:21], v[18:19], -v[20:21]
	v_add_f64 v[16:17], v[16:17], -v[20:21]
	v_cvt_f64_i32_e32 v[20:21], v32
	v_mul_f64 v[24:25], v[20:21], s[16:17]
	v_fma_f64 v[26:27], v[20:21], s[16:17], -v[24:25]
	s_mov_b32 s17, 0xbfe62e42
	v_fma_f64 v[20:21], v[20:21], s[20:21], v[26:27]
	s_mov_b32 s21, 0xbc7abc9e
	v_add_f64 v[26:27], v[24:25], v[20:21]
	v_add_f64 v[24:25], v[26:27], -v[24:25]
	v_add_f64 v[20:21], v[20:21], -v[24:25]
	v_add_f64 v[24:25], v[26:27], v[18:19]
	v_add_f64 v[28:29], v[24:25], -v[26:27]
	v_add_f64 v[30:31], v[24:25], -v[28:29]
	;; [unrolled: 1-line block ×4, first 2 shown]
	v_add_f64 v[18:19], v[18:19], v[26:27]
	v_add_f64 v[26:27], v[20:21], v[16:17]
	v_add_f64 v[28:29], v[26:27], -v[20:21]
	v_add_f64 v[18:19], v[26:27], v[18:19]
	v_add_f64 v[30:31], v[26:27], -v[28:29]
	v_add_f64 v[16:17], v[16:17], -v[28:29]
	;; [unrolled: 1-line block ×3, first 2 shown]
	v_add_f64 v[16:17], v[16:17], v[20:21]
	v_add_f64 v[20:21], v[24:25], v[18:19]
	v_add_f64 v[24:25], v[20:21], -v[24:25]
	v_add_f64 v[18:19], v[18:19], -v[24:25]
	v_add_f64 v[16:17], v[16:17], v[18:19]
	v_mov_b32_e32 v18, 0x7ff00000
	v_add_f64 v[16:17], v[20:21], v[16:17]
	v_mov_b32_e32 v20, 0xfca7ab0c
	v_mov_b32_e32 v21, 0x3e928af3
	v_cndmask_b32_e32 v17, v18, v17, vcc
	s_and_b64 vcc, s[6:7], vcc
	v_cndmask_b32_e64 v11, v11, v17, s[6:7]
	s_mov_b32 s6, 0x652b82fe
	s_mov_b32 s7, 0x3ff71547
	v_cndmask_b32_e32 v10, 0, v16, vcc
	v_mul_f64 v[16:17], v[6:7], s[6:7]
	s_mov_b32 s6, 0x6a5dcb37
	s_mov_b32 s7, 0x3e5ade15
	v_rndne_f64_e32 v[16:17], v[16:17]
	v_fma_f64 v[18:19], v[16:17], s[16:17], v[6:7]
	v_fma_f64 v[6:7], v[6:7], 0.5, -2.0
	v_fma_f64 v[18:19], v[16:17], s[20:21], v[18:19]
	v_cvt_i32_f64_e32 v16, v[16:17]
	v_fma_f64 v[20:21], v[18:19], s[6:7], v[20:21]
	s_mov_b32 s6, 0x623fde64
	s_mov_b32 s7, 0x3ec71dee
	v_fma_f64 v[20:21], v[18:19], v[20:21], s[6:7]
	s_mov_b32 s6, 0x7c89e6b0
	s_mov_b32 s7, 0x3efa0199
	;; [unrolled: 3-line block ×9, first 2 shown]
	v_fma_f64 v[20:21], v[18:19], v[20:21], 1.0
	v_fma_f64 v[18:19], v[18:19], v[20:21], 1.0
	v_ldexp_f64 v[16:17], v[18:19], v16
	v_mov_b32_e32 v18, 0x977da589
	v_mov_b32_e32 v19, 0x3c833362
	v_fma_f64 v[18:19], v[6:7], s[6:7], v[18:19]
	s_mov_b32 s7, 0x3c545cb7
	v_fma_f64 v[20:21], v[6:7], v[18:19], s[6:7]
	s_mov_b32 s6, 0x721ebbb4
	s_mov_b32 s7, 0xbcb184eb
	v_add_f64 v[20:21], v[20:21], s[6:7]
	s_mov_b32 s6, 0x93f65eba
	s_mov_b32 s7, 0x3cdee6d8
	v_fma_f64 v[18:19], v[6:7], v[20:21], -v[18:19]
	v_add_f64 v[18:19], v[18:19], s[6:7]
	s_mov_b32 s6, 0xc297fbeb
	s_mov_b32 s7, 0xbd0a5022
	v_fma_f64 v[20:21], v[6:7], v[18:19], -v[20:21]
	;; [unrolled: 4-line block ×27, first 2 shown]
	v_add_f64 v[6:7], v[6:7], s[6:7]
	v_add_f64 v[6:7], v[6:7], -v[18:19]
	v_mul_f64 v[6:7], v[6:7], 0.5
	v_mul_f64 v[6:7], v[16:17], v[6:7]
	v_mul_f64 v[6:7], v[10:11], v[6:7]
	v_fma_f64 v[6:7], v[8:9], 0.5, -v[6:7]
	v_mul_f64 v[10:11], v[16:17], v[6:7]
                                        ; implicit-def: $vgpr6_vgpr7
.LBB0_48:
	s_andn2_saveexec_b64 s[6:7], s[14:15]
	s_cbranch_execz .LBB0_50
; %bb.49:
	s_mov_b32 s14, 0
	s_mov_b32 s15, 0x40200000
	v_div_scale_f64 v[8:9], s[16:17], v[6:7], v[6:7], s[14:15]
	v_rcp_f64_e32 v[10:11], v[8:9]
	v_fma_f64 v[16:17], -v[8:9], v[10:11], 1.0
	v_fma_f64 v[10:11], v[10:11], v[16:17], v[10:11]
	v_div_scale_f64 v[16:17], vcc, s[14:15], v[6:7], s[14:15]
	v_fma_f64 v[18:19], -v[8:9], v[10:11], 1.0
	v_fma_f64 v[10:11], v[10:11], v[18:19], v[10:11]
	v_mul_f64 v[18:19], v[16:17], v[10:11]
	v_fma_f64 v[8:9], -v[8:9], v[18:19], v[16:17]
	v_div_fmas_f64 v[8:9], v[8:9], v[10:11], v[18:19]
	v_mov_b32_e32 v10, 0x93812603
	v_mov_b32_e32 v11, 0xbc72fecc
	;; [unrolled: 1-line block ×3, first 2 shown]
	v_div_fixup_f64 v[8:9], v[8:9], v[6:7], s[14:15]
	s_mov_b32 s15, 0x3c5871a5
	s_mov_b32 s14, 0xcf8c9ee1
	v_add_f64 v[8:9], v[8:9], -2.0
	v_fma_f64 v[10:11], v[8:9], s[14:15], v[10:11]
	s_mov_b32 s15, 0xbc5871a5
	v_fma_f64 v[16:17], v[8:9], v[10:11], s[14:15]
	s_mov_b32 s14, 0x41a8cdf4
	s_mov_b32 s15, 0x3c8e092e
	v_add_f64 v[16:17], v[16:17], s[14:15]
	s_mov_b32 s14, 0x74d77641
	s_mov_b32 s15, 0xbca82f94
	v_fma_f64 v[10:11], v[8:9], v[16:17], -v[10:11]
	v_add_f64 v[10:11], v[10:11], s[14:15]
	s_mov_b32 s14, 0x6b94785b
	s_mov_b32 s15, 0x3cc3dbf9
	v_fma_f64 v[16:17], v[8:9], v[10:11], -v[16:17]
	;; [unrolled: 4-line block ×17, first 2 shown]
	v_add_f64 v[10:11], v[10:11], s[14:15]
	s_mov_b32 s14, 0
	s_brev_b32 s15, 8
	v_cmp_gt_f64_e32 vcc, s[14:15], v[6:7]
	s_mov_b32 s14, 0xcc7470a9
	s_mov_b32 s15, 0x3eed413f
	v_fma_f64 v[16:17], v[8:9], v[10:11], -v[16:17]
	v_cndmask_b32_e32 v18, 0, v18, vcc
	v_ldexp_f64 v[6:7], v[6:7], v18
	v_add_f64 v[16:17], v[16:17], s[14:15]
	s_mov_b32 s14, 0xe7889f42
	s_mov_b32 s15, 0xbf20d797
	v_rsq_f64_e32 v[18:19], v[6:7]
	v_fma_f64 v[10:11], v[8:9], v[16:17], -v[10:11]
	v_add_f64 v[10:11], v[10:11], s[14:15]
	s_mov_b32 s14, 0xfca79342
	s_mov_b32 s15, 0x3f59b891
	v_mul_f64 v[20:21], v[6:7], v[18:19]
	v_mul_f64 v[18:19], v[18:19], 0.5
	v_fma_f64 v[16:17], v[8:9], v[10:11], -v[16:17]
	v_fma_f64 v[24:25], -v[18:19], v[20:21], 0.5
	v_add_f64 v[16:17], v[16:17], s[14:15]
	s_mov_b32 s14, 0x2d4ff71e
	s_mov_b32 s15, 0xbfa019f7
	v_fma_f64 v[20:21], v[20:21], v[24:25], v[20:21]
	v_fma_f64 v[18:19], v[18:19], v[24:25], v[18:19]
	v_fma_f64 v[10:11], v[8:9], v[16:17], -v[10:11]
	v_fma_f64 v[24:25], -v[20:21], v[20:21], v[6:7]
	v_add_f64 v[10:11], v[10:11], s[14:15]
	s_mov_b32 s14, 0x9f4e6907
	s_mov_b32 s15, 0x400385bd
	v_fma_f64 v[20:21], v[24:25], v[18:19], v[20:21]
	v_fma_f64 v[8:9], v[8:9], v[10:11], -v[16:17]
	v_fma_f64 v[10:11], -v[20:21], v[20:21], v[6:7]
	v_add_f64 v[8:9], v[8:9], s[14:15]
	v_fma_f64 v[10:11], v[10:11], v[18:19], v[20:21]
	v_add_f64 v[8:9], v[8:9], -v[16:17]
	v_mov_b32_e32 v16, 0xffffff80
	v_mov_b32_e32 v17, 0x260
	v_cndmask_b32_e32 v16, 0, v16, vcc
	v_cmp_class_f64_e32 vcc, v[6:7], v17
	v_ldexp_f64 v[10:11], v[10:11], v16
	v_mul_f64 v[8:9], v[8:9], 0.5
	v_cndmask_b32_e32 v7, v11, v7, vcc
	v_cndmask_b32_e32 v6, v10, v6, vcc
	v_div_scale_f64 v[10:11], s[14:15], v[6:7], v[6:7], v[8:9]
	v_div_scale_f64 v[20:21], vcc, v[8:9], v[6:7], v[8:9]
	v_rcp_f64_e32 v[16:17], v[10:11]
	v_fma_f64 v[18:19], -v[10:11], v[16:17], 1.0
	v_fma_f64 v[16:17], v[16:17], v[18:19], v[16:17]
	v_fma_f64 v[18:19], -v[10:11], v[16:17], 1.0
	v_fma_f64 v[16:17], v[16:17], v[18:19], v[16:17]
	v_mul_f64 v[18:19], v[20:21], v[16:17]
	v_fma_f64 v[10:11], -v[10:11], v[18:19], v[20:21]
	v_div_fmas_f64 v[10:11], v[10:11], v[16:17], v[18:19]
	v_div_fixup_f64 v[10:11], v[10:11], v[6:7], v[8:9]
.LBB0_50:
	s_or_b64 exec, exec, s[6:7]
.LBB0_51:
	s_or_b64 exec, exec, s[12:13]
.LBB0_52:
	s_or_b64 exec, exec, s[10:11]
	s_or_b64 exec, exec, s[8:9]
	s_and_saveexec_b64 s[6:7], s[4:5]
	s_xor_b64 s[4:5], exec, s[6:7]
	s_cbranch_execz .LBB0_40
.LBB0_53:
	v_mov_b32_e32 v6, 0
	v_lshlrev_b64 v[5:6], 3, v[5:6]
	v_mov_b32_e32 v22, v23
	v_add_co_u32_e32 v5, vcc, v0, v5
	v_addc_co_u32_e32 v6, vcc, v1, v6, vcc
	flat_store_dwordx2 v[5:6], v[2:3]
	s_or_b64 exec, exec, s[4:5]
	v_cmp_lt_i32_e32 vcc, v22, v4
	s_and_saveexec_b64 s[4:5], vcc
	s_cbranch_execz .LBB0_41
.LBB0_54:
	v_add_u32_e32 v2, s18, v22
	v_mov_b32_e32 v3, 0
	v_lshlrev_b64 v[2:3], 3, v[2:3]
	v_add_u32_e32 v22, 0x100, v22
	v_add_co_u32_e32 v2, vcc, v0, v2
	v_addc_co_u32_e32 v3, vcc, v1, v3, vcc
	flat_store_dwordx2 v[2:3], v[14:15]
	s_or_b64 exec, exec, s[4:5]
	v_cmp_lt_i32_e32 vcc, v22, v4
	s_and_saveexec_b64 s[4:5], vcc
	s_cbranch_execz .LBB0_42
.LBB0_55:
	v_add_u32_e32 v2, s18, v22
	v_mov_b32_e32 v3, 0
	v_lshlrev_b64 v[2:3], 3, v[2:3]
	v_add_u32_e32 v22, 0x100, v22
	v_add_co_u32_e32 v2, vcc, v0, v2
	v_addc_co_u32_e32 v3, vcc, v1, v3, vcc
	flat_store_dwordx2 v[2:3], v[12:13]
	s_or_b64 exec, exec, s[4:5]
	v_cmp_lt_i32_e32 vcc, v22, v4
	s_and_saveexec_b64 s[4:5], vcc
	s_cbranch_execz .LBB0_43
.LBB0_56:
	v_add_u32_e32 v2, s18, v22
	v_mov_b32_e32 v3, 0
	v_lshlrev_b64 v[2:3], 3, v[2:3]
	v_add_co_u32_e32 v0, vcc, v0, v2
	v_addc_co_u32_e32 v1, vcc, v1, v3, vcc
	flat_store_dwordx2 v[0:1], v[10:11]
	s_or_b64 exec, exec, s[4:5]
	s_waitcnt vmcnt(0) lgkmcnt(0)
	s_setpc_b64 s[30:31]
.Lfunc_end0:
	.size	_ZN2at6native25elementwise_kernel_helperILb0EZZZNS0_12_GLOBAL__N_137scaled_modified_bessel_k0_kernel_cudaERNS_18TensorIteratorBaseEENKUlvE_clEvENKUlvE_clEvEUldE_NS0_6memory8policies11unroll_baseILi256ESt5arrayIPcLm2EE23TrivialOffsetCalculatorILi1EjESF_NS8_15LoadWithoutCastENS8_16StoreWithoutCastELi4ELi1EEEEEvT0_T1_, .Lfunc_end0-_ZN2at6native25elementwise_kernel_helperILb0EZZZNS0_12_GLOBAL__N_137scaled_modified_bessel_k0_kernel_cudaERNS_18TensorIteratorBaseEENKUlvE_clEvENKUlvE_clEvEUldE_NS0_6memory8policies11unroll_baseILi256ESt5arrayIPcLm2EE23TrivialOffsetCalculatorILi1EjESF_NS8_15LoadWithoutCastENS8_16StoreWithoutCastELi4ELi1EEEEEvT0_T1_
                                        ; -- End function
	.set .L_ZN2at6native25elementwise_kernel_helperILb0EZZZNS0_12_GLOBAL__N_137scaled_modified_bessel_k0_kernel_cudaERNS_18TensorIteratorBaseEENKUlvE_clEvENKUlvE_clEvEUldE_NS0_6memory8policies11unroll_baseILi256ESt5arrayIPcLm2EE23TrivialOffsetCalculatorILi1EjESF_NS8_15LoadWithoutCastENS8_16StoreWithoutCastELi4ELi1EEEEEvT0_T1_.num_vgpr, 37
	.set .L_ZN2at6native25elementwise_kernel_helperILb0EZZZNS0_12_GLOBAL__N_137scaled_modified_bessel_k0_kernel_cudaERNS_18TensorIteratorBaseEENKUlvE_clEvENKUlvE_clEvEUldE_NS0_6memory8policies11unroll_baseILi256ESt5arrayIPcLm2EE23TrivialOffsetCalculatorILi1EjESF_NS8_15LoadWithoutCastENS8_16StoreWithoutCastELi4ELi1EEEEEvT0_T1_.num_agpr, 0
	.set .L_ZN2at6native25elementwise_kernel_helperILb0EZZZNS0_12_GLOBAL__N_137scaled_modified_bessel_k0_kernel_cudaERNS_18TensorIteratorBaseEENKUlvE_clEvENKUlvE_clEvEUldE_NS0_6memory8policies11unroll_baseILi256ESt5arrayIPcLm2EE23TrivialOffsetCalculatorILi1EjESF_NS8_15LoadWithoutCastENS8_16StoreWithoutCastELi4ELi1EEEEEvT0_T1_.numbered_sgpr, 32
	.set .L_ZN2at6native25elementwise_kernel_helperILb0EZZZNS0_12_GLOBAL__N_137scaled_modified_bessel_k0_kernel_cudaERNS_18TensorIteratorBaseEENKUlvE_clEvENKUlvE_clEvEUldE_NS0_6memory8policies11unroll_baseILi256ESt5arrayIPcLm2EE23TrivialOffsetCalculatorILi1EjESF_NS8_15LoadWithoutCastENS8_16StoreWithoutCastELi4ELi1EEEEEvT0_T1_.num_named_barrier, 0
	.set .L_ZN2at6native25elementwise_kernel_helperILb0EZZZNS0_12_GLOBAL__N_137scaled_modified_bessel_k0_kernel_cudaERNS_18TensorIteratorBaseEENKUlvE_clEvENKUlvE_clEvEUldE_NS0_6memory8policies11unroll_baseILi256ESt5arrayIPcLm2EE23TrivialOffsetCalculatorILi1EjESF_NS8_15LoadWithoutCastENS8_16StoreWithoutCastELi4ELi1EEEEEvT0_T1_.private_seg_size, 0
	.set .L_ZN2at6native25elementwise_kernel_helperILb0EZZZNS0_12_GLOBAL__N_137scaled_modified_bessel_k0_kernel_cudaERNS_18TensorIteratorBaseEENKUlvE_clEvENKUlvE_clEvEUldE_NS0_6memory8policies11unroll_baseILi256ESt5arrayIPcLm2EE23TrivialOffsetCalculatorILi1EjESF_NS8_15LoadWithoutCastENS8_16StoreWithoutCastELi4ELi1EEEEEvT0_T1_.uses_vcc, 1
	.set .L_ZN2at6native25elementwise_kernel_helperILb0EZZZNS0_12_GLOBAL__N_137scaled_modified_bessel_k0_kernel_cudaERNS_18TensorIteratorBaseEENKUlvE_clEvENKUlvE_clEvEUldE_NS0_6memory8policies11unroll_baseILi256ESt5arrayIPcLm2EE23TrivialOffsetCalculatorILi1EjESF_NS8_15LoadWithoutCastENS8_16StoreWithoutCastELi4ELi1EEEEEvT0_T1_.uses_flat_scratch, 0
	.set .L_ZN2at6native25elementwise_kernel_helperILb0EZZZNS0_12_GLOBAL__N_137scaled_modified_bessel_k0_kernel_cudaERNS_18TensorIteratorBaseEENKUlvE_clEvENKUlvE_clEvEUldE_NS0_6memory8policies11unroll_baseILi256ESt5arrayIPcLm2EE23TrivialOffsetCalculatorILi1EjESF_NS8_15LoadWithoutCastENS8_16StoreWithoutCastELi4ELi1EEEEEvT0_T1_.has_dyn_sized_stack, 0
	.set .L_ZN2at6native25elementwise_kernel_helperILb0EZZZNS0_12_GLOBAL__N_137scaled_modified_bessel_k0_kernel_cudaERNS_18TensorIteratorBaseEENKUlvE_clEvENKUlvE_clEvEUldE_NS0_6memory8policies11unroll_baseILi256ESt5arrayIPcLm2EE23TrivialOffsetCalculatorILi1EjESF_NS8_15LoadWithoutCastENS8_16StoreWithoutCastELi4ELi1EEEEEvT0_T1_.has_recursion, 0
	.set .L_ZN2at6native25elementwise_kernel_helperILb0EZZZNS0_12_GLOBAL__N_137scaled_modified_bessel_k0_kernel_cudaERNS_18TensorIteratorBaseEENKUlvE_clEvENKUlvE_clEvEUldE_NS0_6memory8policies11unroll_baseILi256ESt5arrayIPcLm2EE23TrivialOffsetCalculatorILi1EjESF_NS8_15LoadWithoutCastENS8_16StoreWithoutCastELi4ELi1EEEEEvT0_T1_.has_indirect_call, 0
	.section	.AMDGPU.csdata,"",@progbits
; Function info:
; codeLenInByte = 15292
; TotalNumSgprs: 36
; NumVgprs: 37
; ScratchSize: 0
; MemoryBound: 0
	.text
	.p2align	2                               ; -- Begin function _ZN2at6native25elementwise_kernel_helperILb0EZZZNS0_12_GLOBAL__N_137scaled_modified_bessel_k0_kernel_cudaERNS_18TensorIteratorBaseEENKUlvE_clEvENKUlvE_clEvEUldE_NS0_6memory8policies10vectorizedILi4ESt5arrayIPcLm2EELi4EEEEEvT0_T1_
	.type	_ZN2at6native25elementwise_kernel_helperILb0EZZZNS0_12_GLOBAL__N_137scaled_modified_bessel_k0_kernel_cudaERNS_18TensorIteratorBaseEENKUlvE_clEvENKUlvE_clEvEUldE_NS0_6memory8policies10vectorizedILi4ESt5arrayIPcLm2EELi4EEEEEvT0_T1_,@function
_ZN2at6native25elementwise_kernel_helperILb0EZZZNS0_12_GLOBAL__N_137scaled_modified_bessel_k0_kernel_cudaERNS_18TensorIteratorBaseEENKUlvE_clEvENKUlvE_clEvEUldE_NS0_6memory8policies10vectorizedILi4ESt5arrayIPcLm2EELi4EEEEEvT0_T1_: ; @_ZN2at6native25elementwise_kernel_helperILb0EZZZNS0_12_GLOBAL__N_137scaled_modified_bessel_k0_kernel_cudaERNS_18TensorIteratorBaseEENKUlvE_clEvENKUlvE_clEvEUldE_NS0_6memory8policies10vectorizedILi4ESt5arrayIPcLm2EELi4EEEEEvT0_T1_
; %bb.0:
	s_waitcnt vmcnt(0) expcnt(0) lgkmcnt(0)
	s_lshl_b32 s4, s12, 10
	s_ashr_i32 s5, s4, 31
	s_lshl_b64 s[6:7], s[4:5], 3
	v_mov_b32_e32 v4, s7
	v_add_co_u32_e32 v2, vcc, s6, v2
	v_addc_co_u32_e32 v3, vcc, v3, v4, vcc
	v_and_b32_e32 v4, 0x3ff, v31
	v_lshlrev_b32_e32 v26, 5, v4
	v_add_co_u32_e32 v2, vcc, v2, v26
	v_addc_co_u32_e32 v3, vcc, 0, v3, vcc
	flat_load_dwordx4 v[10:13], v[2:3]
	flat_load_dwordx4 v[6:9], v[2:3] offset:16
	v_mov_b32_e32 v4, 0
	v_mov_b32_e32 v2, 0
	;; [unrolled: 1-line block ×4, first 2 shown]
	s_waitcnt vmcnt(0) lgkmcnt(0)
	v_cmp_neq_f64_e32 vcc, 0, v[10:11]
	s_and_saveexec_b64 s[8:9], vcc
	s_cbranch_execz .LBB1_8
; %bb.1:
	v_cmp_ngt_f64_e32 vcc, 0, v[10:11]
	v_mov_b32_e32 v2, 0
	v_mov_b32_e32 v3, 0x7ff80000
	s_and_saveexec_b64 s[10:11], vcc
	s_cbranch_execz .LBB1_7
; %bb.2:
	v_cmp_ge_f64_e32 vcc, 2.0, v[10:11]
	s_and_saveexec_b64 s[4:5], vcc
	s_xor_b64 s[12:13], exec, s[4:5]
	s_cbranch_execz .LBB1_4
; %bb.3:
	v_mul_f64 v[2:3], v[10:11], 0.5
	s_mov_b32 s5, 0x3fe55555
	s_mov_b32 s4, 0x55555555
	;; [unrolled: 1-line block ×6, first 2 shown]
	v_frexp_mant_f64_e32 v[14:15], v[2:3]
	v_cmp_gt_f64_e32 vcc, s[4:5], v[14:15]
	s_mov_b32 s4, 0x55555780
	v_cndmask_b32_e64 v16, 0, 1, vcc
	v_ldexp_f64 v[14:15], v[14:15], v16
	v_add_f64 v[16:17], v[14:15], 1.0
	v_add_f64 v[22:23], v[14:15], -1.0
	v_rcp_f64_e32 v[18:19], v[16:17]
	v_add_f64 v[24:25], v[16:17], -1.0
	v_add_f64 v[14:15], v[14:15], -v[24:25]
	v_fma_f64 v[20:21], -v[16:17], v[18:19], 1.0
	v_fma_f64 v[18:19], v[20:21], v[18:19], v[18:19]
	v_fma_f64 v[20:21], -v[16:17], v[18:19], 1.0
	v_fma_f64 v[18:19], v[20:21], v[18:19], v[18:19]
	v_mul_f64 v[20:21], v[22:23], v[18:19]
	v_mul_f64 v[27:28], v[16:17], v[20:21]
	v_fma_f64 v[16:17], v[20:21], v[16:17], -v[27:28]
	v_fma_f64 v[14:15], v[20:21], v[14:15], v[16:17]
	v_add_f64 v[16:17], v[27:28], v[14:15]
	v_add_f64 v[24:25], v[22:23], -v[16:17]
	v_add_f64 v[27:28], v[16:17], -v[27:28]
	;; [unrolled: 1-line block ×5, first 2 shown]
	v_mov_b32_e32 v22, 0x6b47b09a
	v_mov_b32_e32 v23, 0x3fc38538
	v_add_f64 v[14:15], v[14:15], v[16:17]
	v_add_f64 v[14:15], v[24:25], v[14:15]
	v_mul_f64 v[14:15], v[18:19], v[14:15]
	v_add_f64 v[16:17], v[20:21], v[14:15]
	v_mul_f64 v[18:19], v[16:17], v[16:17]
	v_fma_f64 v[22:23], v[18:19], s[14:15], v[22:23]
	s_mov_b32 s14, 0xd7f4df2e
	s_mov_b32 s15, 0x3fc7474d
	v_mul_f64 v[24:25], v[16:17], v[18:19]
	v_fma_f64 v[22:23], v[18:19], v[22:23], s[14:15]
	s_mov_b32 s14, 0x16291751
	s_mov_b32 s15, 0x3fcc71c0
	v_fma_f64 v[22:23], v[18:19], v[22:23], s[14:15]
	s_mov_b32 s14, 0x9b27acf1
	s_mov_b32 s15, 0x3fd24924
	;; [unrolled: 3-line block ×4, first 2 shown]
	v_fma_f64 v[18:19], v[18:19], v[22:23], s[4:5]
	v_ldexp_f64 v[22:23], v[16:17], 1
	v_add_f64 v[16:17], v[16:17], -v[20:21]
	s_mov_b32 s5, 0x3fe62e42
	s_mov_b32 s4, 0xfefa39ef
	v_mul_f64 v[18:19], v[24:25], v[18:19]
	v_frexp_exp_i32_f64_e32 v24, v[2:3]
	v_add_f64 v[14:15], v[14:15], -v[16:17]
	v_add_f64 v[20:21], v[22:23], v[18:19]
	v_subbrev_co_u32_e32 v24, vcc, 0, v24, vcc
	v_cvt_f64_i32_e32 v[24:25], v24
	v_ldexp_f64 v[14:15], v[14:15], 1
	v_mul_f64 v[27:28], v[24:25], s[4:5]
	v_add_f64 v[16:17], v[20:21], -v[22:23]
	v_fma_f64 v[22:23], v[24:25], s[4:5], -v[27:28]
	v_add_f64 v[16:17], v[18:19], -v[16:17]
	s_mov_b32 s5, 0xbfe62e42
	v_fma_f64 v[22:23], v[24:25], s[14:15], v[22:23]
	v_add_f64 v[14:15], v[14:15], v[16:17]
	s_mov_b32 s15, 0xbc7abc9e
	v_add_f64 v[16:17], v[27:28], v[22:23]
	v_add_f64 v[24:25], v[20:21], v[14:15]
	v_add_f64 v[27:28], v[16:17], -v[27:28]
	v_add_f64 v[18:19], v[16:17], v[24:25]
	v_add_f64 v[20:21], v[24:25], -v[20:21]
	v_add_f64 v[27:28], v[22:23], -v[27:28]
	;; [unrolled: 1-line block ×6, first 2 shown]
	v_mul_f64 v[24:25], v[10:11], s[16:17]
	v_add_f64 v[16:17], v[16:17], -v[20:21]
	v_add_f64 v[20:21], v[27:28], v[14:15]
	v_rndne_f64_e32 v[31:32], v[24:25]
	v_add_f64 v[16:17], v[22:23], v[16:17]
	v_add_f64 v[29:30], v[20:21], -v[27:28]
	v_add_f64 v[22:23], v[14:15], -v[29:30]
	;; [unrolled: 1-line block ×3, first 2 shown]
	v_add_f64 v[20:21], v[20:21], v[16:17]
	v_fma_f64 v[16:17], v[31:32], s[4:5], v[10:11]
	s_mov_b32 s4, 0x6a5dcb37
	s_mov_b32 s5, 0x3e5ade15
	v_add_f64 v[24:25], v[27:28], -v[14:15]
	v_mov_b32_e32 v14, 0xfca7ab0c
	v_fma_f64 v[16:17], v[31:32], s[14:15], v[16:17]
	v_mov_b32_e32 v15, 0x3e928af3
	v_fma_f64 v[28:29], v[10:11], 0.5, -2.0
	s_mov_b32 s14, 0x9035a22a
	s_mov_b32 s15, 0x3fe5a84e
	v_cvt_i32_f64_e32 v27, v[31:32]
	v_add_f64 v[22:23], v[22:23], v[24:25]
	v_mov_b32_e32 v24, 0x977da589
	v_fma_f64 v[14:15], v[16:17], s[4:5], v[14:15]
	s_mov_b32 s4, 0x623fde64
	s_mov_b32 s5, 0x3ec71dee
	v_mov_b32_e32 v25, 0x3c833362
	v_fma_f64 v[14:15], v[16:17], v[14:15], s[4:5]
	s_mov_b32 s4, 0x7c89e6b0
	s_mov_b32 s5, 0x3efa0199
	v_fma_f64 v[14:15], v[16:17], v[14:15], s[4:5]
	s_mov_b32 s4, 0x14761f6e
	s_mov_b32 s5, 0x3f2a01a0
	;; [unrolled: 3-line block ×8, first 2 shown]
	v_fma_f64 v[24:25], v[28:29], s[4:5], v[24:25]
	s_mov_b32 s5, 0x3c545cb7
	v_fma_f64 v[14:15], v[16:17], v[14:15], 1.0
	v_fma_f64 v[16:17], v[16:17], v[14:15], 1.0
	v_add_f64 v[14:15], v[18:19], v[20:21]
	v_ldexp_f64 v[16:17], v[16:17], v27
	v_add_f64 v[18:19], v[14:15], -v[18:19]
	v_add_f64 v[18:19], v[20:21], -v[18:19]
	v_fma_f64 v[20:21], v[28:29], v[24:25], s[4:5]
	s_mov_b32 s4, 0x721ebbb4
	s_mov_b32 s5, 0xbcb184eb
	v_add_f64 v[18:19], v[22:23], v[18:19]
	v_add_f64 v[20:21], v[20:21], s[4:5]
	s_mov_b32 s4, 0x93f65eba
	s_mov_b32 s5, 0x3cdee6d8
	v_mov_b32_e32 v22, 0xc384c2aa
	v_mov_b32_e32 v23, 0x3d27fb0a
	v_add_f64 v[14:15], v[14:15], v[18:19]
	v_fma_f64 v[24:25], v[28:29], v[20:21], -v[24:25]
	v_add_f64 v[24:25], v[24:25], s[4:5]
	s_mov_b32 s4, 0xc297fbeb
	s_mov_b32 s5, 0xbd0a5022
	v_fma_f64 v[20:21], v[28:29], v[24:25], -v[20:21]
	v_add_f64 v[20:21], v[20:21], s[4:5]
	s_mov_b32 s4, 0x4b262627
	s_mov_b32 s5, 0x3d359b46
	v_fma_f64 v[24:25], v[28:29], v[20:21], -v[24:25]
	v_add_f64 v[24:25], v[24:25], s[4:5]
	s_mov_b32 s4, 0x62ee1af0
	s_mov_b32 s5, 0xbd61164c
	v_fma_f64 v[20:21], v[28:29], v[24:25], -v[20:21]
	v_add_f64 v[20:21], v[20:21], s[4:5]
	s_mov_b32 s4, 0xe19bd324
	s_mov_b32 s5, 0x3d89fe2f
	v_fma_f64 v[24:25], v[28:29], v[20:21], -v[24:25]
	v_add_f64 v[24:25], v[24:25], s[4:5]
	s_mov_b32 s4, 0x7a946abc
	s_mov_b32 s5, 0xbdb2fc95
	v_fma_f64 v[20:21], v[28:29], v[24:25], -v[20:21]
	v_add_f64 v[20:21], v[20:21], s[4:5]
	s_mov_b32 s4, 0xcc743c10
	s_mov_b32 s5, 0x3dda98be
	v_fma_f64 v[24:25], v[28:29], v[20:21], -v[24:25]
	v_add_f64 v[24:25], v[24:25], s[4:5]
	s_mov_b32 s4, 0x13ae9556
	s_mov_b32 s5, 0xbe01d4fe
	v_fma_f64 v[20:21], v[28:29], v[24:25], -v[20:21]
	v_add_f64 v[20:21], v[20:21], s[4:5]
	s_mov_b32 s4, 0xa454cb34
	s_mov_b32 s5, 0x3e26d903
	v_fma_f64 v[24:25], v[28:29], v[20:21], -v[24:25]
	v_add_f64 v[24:25], v[24:25], s[4:5]
	s_mov_b32 s4, 0x8c0b30ab
	s_mov_b32 s5, 0xbe4beaf6
	v_fma_f64 v[20:21], v[28:29], v[24:25], -v[20:21]
	v_add_f64 v[20:21], v[20:21], s[4:5]
	s_mov_b32 s4, 0x9d4d6435
	s_mov_b32 s5, 0x3e703b76
	v_fma_f64 v[24:25], v[28:29], v[20:21], -v[24:25]
	v_add_f64 v[24:25], v[24:25], s[4:5]
	s_mov_b32 s4, 0x8f227f8d
	s_mov_b32 s5, 0xbe91ec63
	v_fma_f64 v[20:21], v[28:29], v[24:25], -v[20:21]
	v_add_f64 v[20:21], v[20:21], s[4:5]
	s_mov_b32 s4, 0x978cf4ac
	s_mov_b32 s5, 0x3eb2bf24
	v_fma_f64 v[24:25], v[28:29], v[20:21], -v[24:25]
	v_add_f64 v[24:25], v[24:25], s[4:5]
	s_mov_b32 s4, 0xcba56427
	s_mov_b32 s5, 0xbed2866f
	v_fma_f64 v[20:21], v[28:29], v[24:25], -v[20:21]
	v_add_f64 v[20:21], v[20:21], s[4:5]
	s_mov_b32 s4, 0xbe9a2859
	s_mov_b32 s5, 0x3ef13f58
	v_fma_f64 v[24:25], v[28:29], v[20:21], -v[24:25]
	v_add_f64 v[24:25], v[24:25], s[4:5]
	s_mov_b32 s4, 0x59c41d5a
	s_mov_b32 s5, 0xbf0e2b26
	v_fma_f64 v[20:21], v[28:29], v[24:25], -v[20:21]
	v_add_f64 v[20:21], v[20:21], s[4:5]
	s_mov_b32 s4, 0x74107cab
	s_mov_b32 s5, 0x3f28b51b
	v_fma_f64 v[24:25], v[28:29], v[20:21], -v[24:25]
	v_add_f64 v[24:25], v[24:25], s[4:5]
	s_mov_b32 s4, 0x1f15eb52
	s_mov_b32 s5, 0xbf42e2fd
	v_fma_f64 v[20:21], v[28:29], v[24:25], -v[20:21]
	v_add_f64 v[20:21], v[20:21], s[4:5]
	s_mov_b32 s4, 0x8a12100e
	s_mov_b32 s5, 0x3f5adc75
	v_fma_f64 v[24:25], v[28:29], v[20:21], -v[24:25]
	v_add_f64 v[24:25], v[24:25], s[4:5]
	s_mov_b32 s4, 0x201aa849
	s_mov_b32 s5, 0xbf71b65e
	v_fma_f64 v[20:21], v[28:29], v[24:25], -v[20:21]
	v_add_f64 v[20:21], v[20:21], s[4:5]
	s_mov_b32 s4, 0xf3dde3dd
	s_mov_b32 s5, 0x3f859961
	v_fma_f64 v[24:25], v[28:29], v[20:21], -v[24:25]
	v_add_f64 v[24:25], v[24:25], s[4:5]
	s_mov_b32 s4, 0xf121b6f0
	s_mov_b32 s5, 0xbf984e9e
	v_fma_f64 v[20:21], v[28:29], v[24:25], -v[20:21]
	v_add_f64 v[20:21], v[20:21], s[4:5]
	s_mov_b32 s4, 0xcea8a32d
	s_mov_b32 s5, 0x3fa93e8a
	v_fma_f64 v[24:25], v[28:29], v[20:21], -v[24:25]
	v_add_f64 v[24:25], v[24:25], s[4:5]
	s_mov_b32 s4, 0x342d06ea
	s_mov_b32 s5, 0xbfb84b70
	v_fma_f64 v[20:21], v[28:29], v[24:25], -v[20:21]
	v_add_f64 v[20:21], v[20:21], s[4:5]
	s_mov_b32 s4, 0x77ac88c0
	s_mov_b32 s5, 0x3fc5f7ac
	v_fma_f64 v[24:25], v[28:29], v[20:21], -v[24:25]
	v_add_f64 v[24:25], v[24:25], s[4:5]
	s_mov_b32 s4, 0xc057cd8d
	s_mov_b32 s5, 0xbfd37feb
	v_fma_f64 v[20:21], v[28:29], v[24:25], -v[20:21]
	v_add_f64 v[20:21], v[20:21], s[4:5]
	s_mov_b32 s5, 0x3ca3cee1
	s_mov_b32 s4, 0xe6a7fd77
	v_fma_f64 v[20:21], v[28:29], v[20:21], -v[24:25]
	v_fma_f64 v[28:29], v[10:11], v[10:11], -2.0
	v_add_f64 v[20:21], v[20:21], s[14:15]
	v_fma_f64 v[22:23], v[28:29], s[4:5], v[22:23]
	s_mov_b32 s5, 0xbca3cee1
	s_mov_b32 s14, 0
	s_mov_b32 s15, 0x7ff00000
	v_cmp_neq_f64_e32 vcc, s[14:15], v[2:3]
	v_add_f64 v[20:21], v[20:21], -v[24:25]
	v_fma_f64 v[24:25], v[28:29], v[22:23], s[4:5]
	s_mov_b32 s4, 0x47512144
	s_mov_b32 s5, 0x3da6c25c
	v_mul_f64 v[18:19], v[20:21], 0.5
	v_add_f64 v[24:25], v[24:25], s[4:5]
	s_mov_b32 s4, 0x67e58a13
	s_mov_b32 s5, 0x3e205c13
	v_fma_f64 v[22:23], v[28:29], v[24:25], -v[22:23]
	v_add_f64 v[22:23], v[22:23], s[4:5]
	s_mov_b32 s4, 0xe7f95efc
	s_mov_b32 s5, 0x3e9102bc
	v_fma_f64 v[24:25], v[28:29], v[22:23], -v[24:25]
	;; [unrolled: 4-line block ×7, first 2 shown]
	v_add_f64 v[20:21], v[24:25], s[4:5]
	v_cmp_neq_f64_e64 s[4:5], 0, v[2:3]
	v_mul_f64 v[2:3], v[16:17], v[18:19]
	v_mov_b32_e32 v18, 0x7ff00000
	v_cndmask_b32_e32 v15, v18, v15, vcc
	v_mov_b32_e32 v24, 0xfff00000
	v_add_f64 v[18:19], v[20:21], -v[22:23]
	s_and_b64 vcc, s[4:5], vcc
	v_cndmask_b32_e64 v15, v24, v15, s[4:5]
	v_cndmask_b32_e32 v14, 0, v14, vcc
	v_mul_f64 v[2:3], v[14:15], v[2:3]
	v_fma_f64 v[2:3], v[18:19], 0.5, -v[2:3]
	v_mul_f64 v[2:3], v[16:17], v[2:3]
.LBB1_4:
	s_andn2_saveexec_b64 s[4:5], s[12:13]
	s_cbranch_execz .LBB1_6
; %bb.5:
	s_mov_b32 s12, 0
	s_mov_b32 s13, 0x40200000
	v_div_scale_f64 v[2:3], s[14:15], v[10:11], v[10:11], s[12:13]
	v_rcp_f64_e32 v[14:15], v[2:3]
	v_fma_f64 v[16:17], -v[2:3], v[14:15], 1.0
	v_fma_f64 v[14:15], v[14:15], v[16:17], v[14:15]
	v_div_scale_f64 v[16:17], vcc, s[12:13], v[10:11], s[12:13]
	v_fma_f64 v[18:19], -v[2:3], v[14:15], 1.0
	v_fma_f64 v[14:15], v[14:15], v[18:19], v[14:15]
	v_mul_f64 v[18:19], v[16:17], v[14:15]
	v_fma_f64 v[2:3], -v[2:3], v[18:19], v[16:17]
	v_div_fmas_f64 v[2:3], v[2:3], v[14:15], v[18:19]
	v_mov_b32_e32 v14, 0x93812603
	v_mov_b32_e32 v15, 0xbc72fecc
	;; [unrolled: 1-line block ×3, first 2 shown]
	v_div_fixup_f64 v[2:3], v[2:3], v[10:11], s[12:13]
	s_mov_b32 s13, 0x3c5871a5
	s_mov_b32 s12, 0xcf8c9ee1
	v_add_f64 v[2:3], v[2:3], -2.0
	v_fma_f64 v[14:15], v[2:3], s[12:13], v[14:15]
	s_mov_b32 s13, 0xbc5871a5
	v_fma_f64 v[16:17], v[2:3], v[14:15], s[12:13]
	s_mov_b32 s12, 0x41a8cdf4
	s_mov_b32 s13, 0x3c8e092e
	v_add_f64 v[16:17], v[16:17], s[12:13]
	s_mov_b32 s12, 0x74d77641
	s_mov_b32 s13, 0xbca82f94
	v_fma_f64 v[14:15], v[2:3], v[16:17], -v[14:15]
	v_add_f64 v[14:15], v[14:15], s[12:13]
	s_mov_b32 s12, 0x6b94785b
	s_mov_b32 s13, 0x3cc3dbf9
	v_fma_f64 v[16:17], v[2:3], v[14:15], -v[16:17]
	;; [unrolled: 4-line block ×17, first 2 shown]
	v_add_f64 v[14:15], v[14:15], s[12:13]
	s_mov_b32 s12, 0
	s_brev_b32 s13, 8
	v_cmp_gt_f64_e32 vcc, s[12:13], v[10:11]
	s_mov_b32 s12, 0xcc7470a9
	s_mov_b32 s13, 0x3eed413f
	v_fma_f64 v[16:17], v[2:3], v[14:15], -v[16:17]
	v_cndmask_b32_e32 v18, 0, v18, vcc
	v_ldexp_f64 v[10:11], v[10:11], v18
	v_add_f64 v[16:17], v[16:17], s[12:13]
	s_mov_b32 s12, 0xe7889f42
	s_mov_b32 s13, 0xbf20d797
	v_rsq_f64_e32 v[18:19], v[10:11]
	v_fma_f64 v[14:15], v[2:3], v[16:17], -v[14:15]
	v_add_f64 v[14:15], v[14:15], s[12:13]
	s_mov_b32 s12, 0xfca79342
	s_mov_b32 s13, 0x3f59b891
	v_mul_f64 v[20:21], v[10:11], v[18:19]
	v_mul_f64 v[18:19], v[18:19], 0.5
	v_fma_f64 v[16:17], v[2:3], v[14:15], -v[16:17]
	v_fma_f64 v[22:23], -v[18:19], v[20:21], 0.5
	v_add_f64 v[16:17], v[16:17], s[12:13]
	s_mov_b32 s12, 0x2d4ff71e
	s_mov_b32 s13, 0xbfa019f7
	v_fma_f64 v[20:21], v[20:21], v[22:23], v[20:21]
	v_fma_f64 v[18:19], v[18:19], v[22:23], v[18:19]
	v_fma_f64 v[14:15], v[2:3], v[16:17], -v[14:15]
	v_fma_f64 v[22:23], -v[20:21], v[20:21], v[10:11]
	v_add_f64 v[14:15], v[14:15], s[12:13]
	s_mov_b32 s12, 0x9f4e6907
	s_mov_b32 s13, 0x400385bd
	v_fma_f64 v[20:21], v[22:23], v[18:19], v[20:21]
	v_fma_f64 v[2:3], v[2:3], v[14:15], -v[16:17]
	v_fma_f64 v[14:15], -v[20:21], v[20:21], v[10:11]
	v_add_f64 v[2:3], v[2:3], s[12:13]
	v_fma_f64 v[14:15], v[14:15], v[18:19], v[20:21]
	v_add_f64 v[2:3], v[2:3], -v[16:17]
	v_mov_b32_e32 v16, 0xffffff80
	v_mov_b32_e32 v17, 0x260
	v_cndmask_b32_e32 v16, 0, v16, vcc
	v_cmp_class_f64_e32 vcc, v[10:11], v17
	v_ldexp_f64 v[14:15], v[14:15], v16
	v_mul_f64 v[2:3], v[2:3], 0.5
	v_cndmask_b32_e32 v11, v15, v11, vcc
	v_cndmask_b32_e32 v10, v14, v10, vcc
	v_div_scale_f64 v[14:15], s[12:13], v[10:11], v[10:11], v[2:3]
	v_div_scale_f64 v[20:21], vcc, v[2:3], v[10:11], v[2:3]
	v_rcp_f64_e32 v[16:17], v[14:15]
	v_fma_f64 v[18:19], -v[14:15], v[16:17], 1.0
	v_fma_f64 v[16:17], v[16:17], v[18:19], v[16:17]
	v_fma_f64 v[18:19], -v[14:15], v[16:17], 1.0
	v_fma_f64 v[16:17], v[16:17], v[18:19], v[16:17]
	v_mul_f64 v[18:19], v[20:21], v[16:17]
	v_fma_f64 v[14:15], -v[14:15], v[18:19], v[20:21]
	v_div_fmas_f64 v[14:15], v[14:15], v[16:17], v[18:19]
	v_div_fixup_f64 v[2:3], v[14:15], v[10:11], v[2:3]
.LBB1_6:
	s_or_b64 exec, exec, s[4:5]
.LBB1_7:
	s_or_b64 exec, exec, s[10:11]
.LBB1_8:
	s_or_b64 exec, exec, s[8:9]
	v_cmp_neq_f64_e32 vcc, 0, v[12:13]
	s_and_saveexec_b64 s[8:9], vcc
	s_cbranch_execz .LBB1_16
; %bb.9:
	v_cmp_ngt_f64_e32 vcc, 0, v[12:13]
	v_mov_b32_e32 v4, 0
	v_mov_b32_e32 v5, 0x7ff80000
	s_and_saveexec_b64 s[10:11], vcc
	s_cbranch_execz .LBB1_15
; %bb.10:
	v_cmp_ge_f64_e32 vcc, 2.0, v[12:13]
	s_and_saveexec_b64 s[4:5], vcc
	s_xor_b64 s[12:13], exec, s[4:5]
	s_cbranch_execz .LBB1_12
; %bb.11:
	v_fma_f64 v[4:5], v[12:13], v[12:13], -2.0
	v_mov_b32_e32 v10, 0xc384c2aa
	v_mov_b32_e32 v11, 0x3d27fb0a
	s_mov_b32 s5, 0x3ca3cee1
	s_mov_b32 s4, 0xe6a7fd77
	;; [unrolled: 1-line block ×5, first 2 shown]
	v_fma_f64 v[10:11], v[4:5], s[4:5], v[10:11]
	s_mov_b32 s5, 0xbca3cee1
	s_mov_b32 s16, 0x3b39803f
	v_fma_f64 v[14:15], v[4:5], v[10:11], s[4:5]
	s_mov_b32 s4, 0x47512144
	s_mov_b32 s5, 0x3da6c25c
	v_add_f64 v[14:15], v[14:15], s[4:5]
	s_mov_b32 s4, 0x67e58a13
	s_mov_b32 s5, 0x3e205c13
	v_fma_f64 v[10:11], v[4:5], v[14:15], -v[10:11]
	v_add_f64 v[10:11], v[10:11], s[4:5]
	s_mov_b32 s4, 0xe7f95efc
	s_mov_b32 s5, 0x3e9102bc
	v_fma_f64 v[14:15], v[4:5], v[10:11], -v[14:15]
	;; [unrolled: 4-line block ×7, first 2 shown]
	v_add_f64 v[4:5], v[4:5], s[4:5]
	s_mov_b32 s5, 0x3fe55555
	s_mov_b32 s4, 0x55555555
	v_add_f64 v[4:5], v[4:5], -v[10:11]
	v_mul_f64 v[10:11], v[12:13], 0.5
	v_frexp_mant_f64_e32 v[14:15], v[10:11]
	v_frexp_exp_i32_f64_e32 v16, v[10:11]
	v_cmp_gt_f64_e32 vcc, s[4:5], v[14:15]
	s_mov_b32 s4, 0x55555780
	v_cndmask_b32_e64 v17, 0, 1, vcc
	v_ldexp_f64 v[14:15], v[14:15], v17
	v_subbrev_co_u32_e32 v29, vcc, 0, v16, vcc
	v_add_f64 v[18:19], v[14:15], 1.0
	v_add_f64 v[16:17], v[14:15], -1.0
	v_add_f64 v[20:21], v[18:19], -1.0
	v_add_f64 v[14:15], v[14:15], -v[20:21]
	v_rcp_f64_e32 v[20:21], v[18:19]
	v_fma_f64 v[22:23], -v[18:19], v[20:21], 1.0
	v_fma_f64 v[20:21], v[22:23], v[20:21], v[20:21]
	v_fma_f64 v[22:23], -v[18:19], v[20:21], 1.0
	v_fma_f64 v[20:21], v[22:23], v[20:21], v[20:21]
	v_mul_f64 v[22:23], v[16:17], v[20:21]
	v_mul_f64 v[24:25], v[18:19], v[22:23]
	v_fma_f64 v[18:19], v[22:23], v[18:19], -v[24:25]
	v_fma_f64 v[14:15], v[22:23], v[14:15], v[18:19]
	v_add_f64 v[18:19], v[24:25], v[14:15]
	v_add_f64 v[27:28], v[16:17], -v[18:19]
	v_add_f64 v[24:25], v[18:19], -v[24:25]
	;; [unrolled: 1-line block ×5, first 2 shown]
	v_add_f64 v[14:15], v[14:15], v[16:17]
	v_add_f64 v[14:15], v[27:28], v[14:15]
	v_mul_f64 v[14:15], v[20:21], v[14:15]
	v_mov_b32_e32 v20, 0x6b47b09a
	v_mov_b32_e32 v21, 0x3fc38538
	v_add_f64 v[16:17], v[22:23], v[14:15]
	v_add_f64 v[18:19], v[16:17], -v[22:23]
	v_ldexp_f64 v[22:23], v[16:17], 1
	v_add_f64 v[14:15], v[14:15], -v[18:19]
	v_mul_f64 v[18:19], v[16:17], v[16:17]
	v_ldexp_f64 v[14:15], v[14:15], 1
	v_fma_f64 v[20:21], v[18:19], s[14:15], v[20:21]
	s_mov_b32 s14, 0xd7f4df2e
	s_mov_b32 s15, 0x3fc7474d
	v_mul_f64 v[16:17], v[16:17], v[18:19]
	v_fma_f64 v[20:21], v[18:19], v[20:21], s[14:15]
	s_mov_b32 s14, 0x16291751
	s_mov_b32 s15, 0x3fcc71c0
	v_fma_f64 v[20:21], v[18:19], v[20:21], s[14:15]
	s_mov_b32 s14, 0x9b27acf1
	s_mov_b32 s15, 0x3fd24924
	;; [unrolled: 3-line block ×5, first 2 shown]
	v_cmp_neq_f64_e32 vcc, s[4:5], v[10:11]
	v_cmp_neq_f64_e64 s[4:5], 0, v[10:11]
	v_mov_b32_e32 v11, 0xfff00000
	v_mul_f64 v[16:17], v[16:17], v[20:21]
	v_add_f64 v[18:19], v[22:23], v[16:17]
	v_add_f64 v[20:21], v[18:19], -v[22:23]
	v_add_f64 v[16:17], v[16:17], -v[20:21]
	v_add_f64 v[14:15], v[14:15], v[16:17]
	v_add_f64 v[16:17], v[18:19], v[14:15]
	v_add_f64 v[18:19], v[16:17], -v[18:19]
	v_add_f64 v[14:15], v[14:15], -v[18:19]
	v_cvt_f64_i32_e32 v[18:19], v29
	v_mul_f64 v[20:21], v[18:19], s[14:15]
	v_fma_f64 v[22:23], v[18:19], s[14:15], -v[20:21]
	s_mov_b32 s15, 0xbfe62e42
	v_fma_f64 v[18:19], v[18:19], s[16:17], v[22:23]
	s_mov_b32 s17, 0xbc7abc9e
	v_add_f64 v[22:23], v[20:21], v[18:19]
	v_add_f64 v[20:21], v[22:23], -v[20:21]
	v_add_f64 v[18:19], v[18:19], -v[20:21]
	v_add_f64 v[20:21], v[22:23], v[16:17]
	v_add_f64 v[24:25], v[20:21], -v[22:23]
	v_add_f64 v[27:28], v[20:21], -v[24:25]
	;; [unrolled: 1-line block ×4, first 2 shown]
	v_add_f64 v[16:17], v[16:17], v[22:23]
	v_add_f64 v[22:23], v[18:19], v[14:15]
	v_add_f64 v[24:25], v[22:23], -v[18:19]
	v_add_f64 v[16:17], v[22:23], v[16:17]
	v_add_f64 v[27:28], v[22:23], -v[24:25]
	v_add_f64 v[14:15], v[14:15], -v[24:25]
	;; [unrolled: 1-line block ×3, first 2 shown]
	v_add_f64 v[14:15], v[14:15], v[18:19]
	v_add_f64 v[18:19], v[20:21], v[16:17]
	v_add_f64 v[20:21], v[18:19], -v[20:21]
	v_add_f64 v[16:17], v[16:17], -v[20:21]
	v_add_f64 v[14:15], v[14:15], v[16:17]
	v_mov_b32_e32 v16, 0x7ff00000
	v_add_f64 v[14:15], v[18:19], v[14:15]
	v_mov_b32_e32 v18, 0xfca7ab0c
	v_mov_b32_e32 v19, 0x3e928af3
	v_cndmask_b32_e32 v15, v16, v15, vcc
	s_and_b64 vcc, s[4:5], vcc
	v_cndmask_b32_e64 v11, v11, v15, s[4:5]
	s_mov_b32 s4, 0x652b82fe
	s_mov_b32 s5, 0x3ff71547
	v_cndmask_b32_e32 v10, 0, v14, vcc
	v_mul_f64 v[14:15], v[12:13], s[4:5]
	s_mov_b32 s4, 0x6a5dcb37
	s_mov_b32 s5, 0x3e5ade15
	v_rndne_f64_e32 v[14:15], v[14:15]
	v_fma_f64 v[16:17], v[14:15], s[14:15], v[12:13]
	v_fma_f64 v[12:13], v[12:13], 0.5, -2.0
	v_fma_f64 v[16:17], v[14:15], s[16:17], v[16:17]
	v_cvt_i32_f64_e32 v14, v[14:15]
	v_fma_f64 v[18:19], v[16:17], s[4:5], v[18:19]
	s_mov_b32 s4, 0x623fde64
	s_mov_b32 s5, 0x3ec71dee
	v_fma_f64 v[18:19], v[16:17], v[18:19], s[4:5]
	s_mov_b32 s4, 0x7c89e6b0
	s_mov_b32 s5, 0x3efa0199
	;; [unrolled: 3-line block ×9, first 2 shown]
	v_fma_f64 v[18:19], v[16:17], v[18:19], 1.0
	v_fma_f64 v[16:17], v[16:17], v[18:19], 1.0
	v_ldexp_f64 v[14:15], v[16:17], v14
	v_mov_b32_e32 v16, 0x977da589
	v_mov_b32_e32 v17, 0x3c833362
	v_fma_f64 v[16:17], v[12:13], s[4:5], v[16:17]
	s_mov_b32 s5, 0x3c545cb7
	v_fma_f64 v[18:19], v[12:13], v[16:17], s[4:5]
	s_mov_b32 s4, 0x721ebbb4
	s_mov_b32 s5, 0xbcb184eb
	v_add_f64 v[18:19], v[18:19], s[4:5]
	s_mov_b32 s4, 0x93f65eba
	s_mov_b32 s5, 0x3cdee6d8
	v_fma_f64 v[16:17], v[12:13], v[18:19], -v[16:17]
	v_add_f64 v[16:17], v[16:17], s[4:5]
	s_mov_b32 s4, 0xc297fbeb
	s_mov_b32 s5, 0xbd0a5022
	v_fma_f64 v[18:19], v[12:13], v[16:17], -v[18:19]
	;; [unrolled: 4-line block ×27, first 2 shown]
	v_add_f64 v[12:13], v[12:13], s[4:5]
	v_add_f64 v[12:13], v[12:13], -v[16:17]
	v_mul_f64 v[12:13], v[12:13], 0.5
	v_mul_f64 v[12:13], v[14:15], v[12:13]
	v_mul_f64 v[10:11], v[10:11], v[12:13]
                                        ; implicit-def: $vgpr12_vgpr13
	v_fma_f64 v[4:5], v[4:5], 0.5, -v[10:11]
	v_mul_f64 v[4:5], v[14:15], v[4:5]
.LBB1_12:
	s_andn2_saveexec_b64 s[4:5], s[12:13]
	s_cbranch_execz .LBB1_14
; %bb.13:
	s_mov_b32 s12, 0
	s_mov_b32 s13, 0x40200000
	v_div_scale_f64 v[4:5], s[14:15], v[12:13], v[12:13], s[12:13]
	v_rcp_f64_e32 v[10:11], v[4:5]
	v_fma_f64 v[14:15], -v[4:5], v[10:11], 1.0
	v_fma_f64 v[10:11], v[10:11], v[14:15], v[10:11]
	v_div_scale_f64 v[14:15], vcc, s[12:13], v[12:13], s[12:13]
	v_fma_f64 v[16:17], -v[4:5], v[10:11], 1.0
	v_fma_f64 v[10:11], v[10:11], v[16:17], v[10:11]
	v_mul_f64 v[16:17], v[14:15], v[10:11]
	v_fma_f64 v[4:5], -v[4:5], v[16:17], v[14:15]
	v_div_fmas_f64 v[4:5], v[4:5], v[10:11], v[16:17]
	v_mov_b32_e32 v10, 0x93812603
	v_mov_b32_e32 v11, 0xbc72fecc
	;; [unrolled: 1-line block ×3, first 2 shown]
	v_div_fixup_f64 v[4:5], v[4:5], v[12:13], s[12:13]
	s_mov_b32 s13, 0x3c5871a5
	s_mov_b32 s12, 0xcf8c9ee1
	v_add_f64 v[4:5], v[4:5], -2.0
	v_fma_f64 v[10:11], v[4:5], s[12:13], v[10:11]
	s_mov_b32 s13, 0xbc5871a5
	v_fma_f64 v[14:15], v[4:5], v[10:11], s[12:13]
	s_mov_b32 s12, 0x41a8cdf4
	s_mov_b32 s13, 0x3c8e092e
	v_add_f64 v[14:15], v[14:15], s[12:13]
	s_mov_b32 s12, 0x74d77641
	s_mov_b32 s13, 0xbca82f94
	v_fma_f64 v[10:11], v[4:5], v[14:15], -v[10:11]
	v_add_f64 v[10:11], v[10:11], s[12:13]
	s_mov_b32 s12, 0x6b94785b
	s_mov_b32 s13, 0x3cc3dbf9
	v_fma_f64 v[14:15], v[4:5], v[10:11], -v[14:15]
	;; [unrolled: 4-line block ×17, first 2 shown]
	v_add_f64 v[10:11], v[10:11], s[12:13]
	s_mov_b32 s12, 0
	s_brev_b32 s13, 8
	v_cmp_gt_f64_e32 vcc, s[12:13], v[12:13]
	s_mov_b32 s12, 0xcc7470a9
	s_mov_b32 s13, 0x3eed413f
	v_fma_f64 v[14:15], v[4:5], v[10:11], -v[14:15]
	v_cndmask_b32_e32 v16, 0, v16, vcc
	v_ldexp_f64 v[12:13], v[12:13], v16
	v_add_f64 v[14:15], v[14:15], s[12:13]
	s_mov_b32 s12, 0xe7889f42
	s_mov_b32 s13, 0xbf20d797
	v_rsq_f64_e32 v[16:17], v[12:13]
	v_fma_f64 v[10:11], v[4:5], v[14:15], -v[10:11]
	v_add_f64 v[10:11], v[10:11], s[12:13]
	s_mov_b32 s12, 0xfca79342
	s_mov_b32 s13, 0x3f59b891
	v_mul_f64 v[18:19], v[12:13], v[16:17]
	v_mul_f64 v[16:17], v[16:17], 0.5
	v_fma_f64 v[14:15], v[4:5], v[10:11], -v[14:15]
	v_fma_f64 v[20:21], -v[16:17], v[18:19], 0.5
	v_add_f64 v[14:15], v[14:15], s[12:13]
	s_mov_b32 s12, 0x2d4ff71e
	s_mov_b32 s13, 0xbfa019f7
	v_fma_f64 v[18:19], v[18:19], v[20:21], v[18:19]
	v_fma_f64 v[16:17], v[16:17], v[20:21], v[16:17]
	v_fma_f64 v[10:11], v[4:5], v[14:15], -v[10:11]
	v_fma_f64 v[20:21], -v[18:19], v[18:19], v[12:13]
	v_add_f64 v[10:11], v[10:11], s[12:13]
	s_mov_b32 s12, 0x9f4e6907
	s_mov_b32 s13, 0x400385bd
	v_fma_f64 v[18:19], v[20:21], v[16:17], v[18:19]
	v_fma_f64 v[4:5], v[4:5], v[10:11], -v[14:15]
	v_fma_f64 v[10:11], -v[18:19], v[18:19], v[12:13]
	v_add_f64 v[4:5], v[4:5], s[12:13]
	v_fma_f64 v[10:11], v[10:11], v[16:17], v[18:19]
	v_add_f64 v[4:5], v[4:5], -v[14:15]
	v_mov_b32_e32 v14, 0xffffff80
	v_mov_b32_e32 v15, 0x260
	v_cndmask_b32_e32 v14, 0, v14, vcc
	v_cmp_class_f64_e32 vcc, v[12:13], v15
	v_ldexp_f64 v[10:11], v[10:11], v14
	v_mul_f64 v[4:5], v[4:5], 0.5
	v_cndmask_b32_e32 v11, v11, v13, vcc
	v_cndmask_b32_e32 v10, v10, v12, vcc
	v_div_scale_f64 v[12:13], s[12:13], v[10:11], v[10:11], v[4:5]
	v_div_scale_f64 v[18:19], vcc, v[4:5], v[10:11], v[4:5]
	v_rcp_f64_e32 v[14:15], v[12:13]
	v_fma_f64 v[16:17], -v[12:13], v[14:15], 1.0
	v_fma_f64 v[14:15], v[14:15], v[16:17], v[14:15]
	v_fma_f64 v[16:17], -v[12:13], v[14:15], 1.0
	v_fma_f64 v[14:15], v[14:15], v[16:17], v[14:15]
	v_mul_f64 v[16:17], v[18:19], v[14:15]
	v_fma_f64 v[12:13], -v[12:13], v[16:17], v[18:19]
	v_div_fmas_f64 v[12:13], v[12:13], v[14:15], v[16:17]
	v_div_fixup_f64 v[4:5], v[12:13], v[10:11], v[4:5]
.LBB1_14:
	s_or_b64 exec, exec, s[4:5]
.LBB1_15:
	s_or_b64 exec, exec, s[10:11]
.LBB1_16:
	s_or_b64 exec, exec, s[8:9]
	v_cmp_neq_f64_e32 vcc, 0, v[6:7]
	v_mov_b32_e32 v12, 0
	v_mov_b32_e32 v10, 0
	;; [unrolled: 1-line block ×4, first 2 shown]
	s_and_saveexec_b64 s[8:9], vcc
	s_cbranch_execz .LBB1_24
; %bb.17:
	v_cmp_ngt_f64_e32 vcc, 0, v[6:7]
	v_mov_b32_e32 v10, 0
	v_mov_b32_e32 v11, 0x7ff80000
	s_and_saveexec_b64 s[10:11], vcc
	s_cbranch_execz .LBB1_23
; %bb.18:
	v_cmp_ge_f64_e32 vcc, 2.0, v[6:7]
	s_and_saveexec_b64 s[4:5], vcc
	s_xor_b64 s[12:13], exec, s[4:5]
	s_cbranch_execz .LBB1_20
; %bb.19:
	v_mul_f64 v[10:11], v[6:7], 0.5
	s_mov_b32 s5, 0x3fe55555
	s_mov_b32 s4, 0x55555555
	;; [unrolled: 1-line block ×7, first 2 shown]
	v_frexp_mant_f64_e32 v[14:15], v[10:11]
	s_mov_b32 s19, 0x3da6c25c
	v_mov_b32_e32 v31, 0xfca7ab0c
	v_mov_b32_e32 v32, 0x3e928af3
	v_cmp_gt_f64_e32 vcc, s[4:5], v[14:15]
	s_mov_b32 s4, 0x55555780
	v_cndmask_b32_e64 v16, 0, 1, vcc
	v_ldexp_f64 v[14:15], v[14:15], v16
	v_add_f64 v[16:17], v[14:15], 1.0
	v_add_f64 v[22:23], v[14:15], -1.0
	v_rcp_f64_e32 v[18:19], v[16:17]
	v_add_f64 v[24:25], v[16:17], -1.0
	v_add_f64 v[14:15], v[14:15], -v[24:25]
	v_fma_f64 v[20:21], -v[16:17], v[18:19], 1.0
	v_fma_f64 v[18:19], v[20:21], v[18:19], v[18:19]
	v_fma_f64 v[20:21], -v[16:17], v[18:19], 1.0
	v_fma_f64 v[18:19], v[20:21], v[18:19], v[18:19]
	v_mul_f64 v[20:21], v[22:23], v[18:19]
	v_mul_f64 v[27:28], v[16:17], v[20:21]
	v_fma_f64 v[16:17], v[20:21], v[16:17], -v[27:28]
	v_fma_f64 v[14:15], v[20:21], v[14:15], v[16:17]
	v_add_f64 v[16:17], v[27:28], v[14:15]
	v_add_f64 v[24:25], v[22:23], -v[16:17]
	v_add_f64 v[27:28], v[16:17], -v[27:28]
	;; [unrolled: 1-line block ×5, first 2 shown]
	v_mov_b32_e32 v22, 0x6b47b09a
	v_mov_b32_e32 v23, 0x3fc38538
	v_add_f64 v[14:15], v[14:15], v[16:17]
	v_add_f64 v[14:15], v[24:25], v[14:15]
	v_mul_f64 v[14:15], v[18:19], v[14:15]
	v_add_f64 v[16:17], v[20:21], v[14:15]
	v_mul_f64 v[18:19], v[16:17], v[16:17]
	v_fma_f64 v[22:23], v[18:19], s[14:15], v[22:23]
	s_mov_b32 s14, 0xd7f4df2e
	s_mov_b32 s15, 0x3fc7474d
	v_mul_f64 v[24:25], v[16:17], v[18:19]
	v_fma_f64 v[22:23], v[18:19], v[22:23], s[14:15]
	s_mov_b32 s14, 0x16291751
	s_mov_b32 s15, 0x3fcc71c0
	v_fma_f64 v[22:23], v[18:19], v[22:23], s[14:15]
	s_mov_b32 s14, 0x9b27acf1
	s_mov_b32 s15, 0x3fd24924
	;; [unrolled: 3-line block ×4, first 2 shown]
	v_fma_f64 v[18:19], v[18:19], v[22:23], s[4:5]
	v_ldexp_f64 v[22:23], v[16:17], 1
	v_add_f64 v[16:17], v[16:17], -v[20:21]
	s_mov_b32 s5, 0x3fe62e42
	s_mov_b32 s4, 0xfefa39ef
	v_mul_f64 v[18:19], v[24:25], v[18:19]
	v_frexp_exp_i32_f64_e32 v24, v[10:11]
	v_add_f64 v[14:15], v[14:15], -v[16:17]
	v_add_f64 v[20:21], v[22:23], v[18:19]
	v_subbrev_co_u32_e32 v24, vcc, 0, v24, vcc
	v_cvt_f64_i32_e32 v[24:25], v24
	v_ldexp_f64 v[14:15], v[14:15], 1
	v_mul_f64 v[27:28], v[24:25], s[4:5]
	v_add_f64 v[16:17], v[20:21], -v[22:23]
	v_fma_f64 v[22:23], v[24:25], s[4:5], -v[27:28]
	v_add_f64 v[16:17], v[18:19], -v[16:17]
	s_mov_b32 s5, 0xbfe62e42
	v_fma_f64 v[18:19], v[24:25], s[14:15], v[22:23]
	v_add_f64 v[14:15], v[14:15], v[16:17]
	s_mov_b32 s15, 0xbc7abc9e
	v_add_f64 v[16:17], v[27:28], v[18:19]
	v_add_f64 v[22:23], v[20:21], v[14:15]
	v_add_f64 v[24:25], v[16:17], -v[27:28]
	v_add_f64 v[27:28], v[16:17], v[22:23]
	v_add_f64 v[20:21], v[22:23], -v[20:21]
	v_add_f64 v[18:19], v[18:19], -v[24:25]
	;; [unrolled: 1-line block ×6, first 2 shown]
	v_fma_f64 v[24:25], v[6:7], v[6:7], -2.0
	v_add_f64 v[29:30], v[16:17], -v[14:15]
	v_mov_b32_e32 v14, 0xc384c2aa
	v_mov_b32_e32 v15, 0x3d27fb0a
	v_fma_f64 v[14:15], v[24:25], s[16:17], v[14:15]
	s_mov_b32 s17, 0xbca3cee1
	v_add_f64 v[22:23], v[22:23], v[29:30]
	v_fma_f64 v[16:17], v[24:25], v[14:15], s[16:17]
	s_mov_b32 s16, 0x67e58a13
	s_mov_b32 s17, 0x3e205c13
	v_add_f64 v[16:17], v[16:17], s[18:19]
	v_fma_f64 v[14:15], v[24:25], v[16:17], -v[14:15]
	v_add_f64 v[14:15], v[14:15], s[16:17]
	s_mov_b32 s16, 0xe7f95efc
	s_mov_b32 s17, 0x3e9102bc
	v_fma_f64 v[16:17], v[24:25], v[14:15], -v[16:17]
	v_add_f64 v[16:17], v[16:17], s[16:17]
	s_mov_b32 s16, 0xfe8cfca0
	s_mov_b32 s17, 0x3ef7f900
	;; [unrolled: 4-line block ×6, first 2 shown]
	v_fma_f64 v[16:17], v[24:25], v[16:17], -v[14:15]
	v_add_f64 v[24:25], v[18:19], v[20:21]
	v_add_f64 v[29:30], v[24:25], -v[18:19]
	v_add_f64 v[22:23], v[24:25], v[22:23]
	v_add_f64 v[24:25], v[24:25], -v[29:30]
	v_add_f64 v[20:21], v[20:21], -v[29:30]
	;; [unrolled: 1-line block ×3, first 2 shown]
	v_add_f64 v[18:19], v[27:28], v[22:23]
	v_add_f64 v[20:21], v[20:21], v[24:25]
	v_add_f64 v[27:28], v[18:19], -v[27:28]
	v_fma_f64 v[24:25], v[6:7], 0.5, -2.0
	v_add_f64 v[22:23], v[22:23], -v[27:28]
	v_mov_b32_e32 v27, 0x977da589
	v_mov_b32_e32 v28, 0x3c833362
	v_fma_f64 v[27:28], v[24:25], s[16:17], v[27:28]
	s_mov_b32 s17, 0x3c545cb7
	v_add_f64 v[20:21], v[20:21], v[22:23]
	v_fma_f64 v[22:23], v[24:25], v[27:28], s[16:17]
	s_mov_b32 s16, 0x721ebbb4
	s_mov_b32 s17, 0xbcb184eb
	v_add_f64 v[18:19], v[18:19], v[20:21]
	v_add_f64 v[22:23], v[22:23], s[16:17]
	s_mov_b32 s16, 0x93f65eba
	s_mov_b32 s17, 0x3cdee6d8
	v_fma_f64 v[27:28], v[24:25], v[22:23], -v[27:28]
	v_add_f64 v[27:28], v[27:28], s[16:17]
	s_mov_b32 s16, 0xc297fbeb
	s_mov_b32 s17, 0xbd0a5022
	v_fma_f64 v[22:23], v[24:25], v[27:28], -v[22:23]
	;; [unrolled: 4-line block ×27, first 2 shown]
	v_mul_f64 v[24:25], v[6:7], s[16:17]
	v_rndne_f64_e32 v[24:25], v[24:25]
	v_fma_f64 v[29:30], v[24:25], s[4:5], v[6:7]
	s_mov_b32 s4, 0x6a5dcb37
	s_mov_b32 s5, 0x3e5ade15
	v_fma_f64 v[29:30], v[24:25], s[14:15], v[29:30]
	v_cvt_i32_f64_e32 v24, v[24:25]
	v_fma_f64 v[31:32], v[29:30], s[4:5], v[31:32]
	s_mov_b32 s4, 0x623fde64
	s_mov_b32 s5, 0x3ec71dee
	v_fma_f64 v[31:32], v[29:30], v[31:32], s[4:5]
	s_mov_b32 s4, 0x7c89e6b0
	s_mov_b32 s5, 0x3efa0199
	;; [unrolled: 3-line block ×9, first 2 shown]
	v_add_f64 v[22:23], v[22:23], s[4:5]
	s_mov_b32 s4, 0xe9d2f61f
	s_mov_b32 s5, 0xbfe12166
	v_add_f64 v[16:17], v[16:17], s[4:5]
	s_mov_b32 s4, 0
	v_fma_f64 v[31:32], v[29:30], v[31:32], 1.0
	s_mov_b32 s5, 0x7ff00000
	v_cmp_neq_f64_e32 vcc, s[4:5], v[10:11]
	v_add_f64 v[22:23], v[22:23], -v[27:28]
	v_cmp_neq_f64_e64 s[4:5], 0, v[10:11]
	v_add_f64 v[14:15], v[16:17], -v[14:15]
	v_mov_b32_e32 v16, 0x7ff00000
	v_fma_f64 v[29:30], v[29:30], v[31:32], 1.0
	v_cndmask_b32_e32 v17, v16, v19, vcc
	v_mul_f64 v[22:23], v[22:23], 0.5
	s_and_b64 vcc, s[4:5], vcc
	v_cndmask_b32_e32 v16, 0, v18, vcc
	v_mov_b32_e32 v18, 0xfff00000
	v_cndmask_b32_e64 v17, v18, v17, s[4:5]
	v_ldexp_f64 v[20:21], v[29:30], v24
	v_mul_f64 v[10:11], v[20:21], v[22:23]
	v_mul_f64 v[10:11], v[16:17], v[10:11]
	v_fma_f64 v[10:11], v[14:15], 0.5, -v[10:11]
	v_mul_f64 v[10:11], v[20:21], v[10:11]
.LBB1_20:
	s_andn2_saveexec_b64 s[4:5], s[12:13]
	s_cbranch_execz .LBB1_22
; %bb.21:
	s_mov_b32 s12, 0
	s_mov_b32 s13, 0x40200000
	v_div_scale_f64 v[10:11], s[14:15], v[6:7], v[6:7], s[12:13]
	v_rcp_f64_e32 v[14:15], v[10:11]
	v_fma_f64 v[16:17], -v[10:11], v[14:15], 1.0
	v_fma_f64 v[14:15], v[14:15], v[16:17], v[14:15]
	v_div_scale_f64 v[16:17], vcc, s[12:13], v[6:7], s[12:13]
	v_fma_f64 v[18:19], -v[10:11], v[14:15], 1.0
	v_fma_f64 v[14:15], v[14:15], v[18:19], v[14:15]
	v_mul_f64 v[18:19], v[16:17], v[14:15]
	v_fma_f64 v[10:11], -v[10:11], v[18:19], v[16:17]
	v_div_fmas_f64 v[10:11], v[10:11], v[14:15], v[18:19]
	v_mov_b32_e32 v14, 0x93812603
	v_mov_b32_e32 v15, 0xbc72fecc
	;; [unrolled: 1-line block ×3, first 2 shown]
	v_div_fixup_f64 v[10:11], v[10:11], v[6:7], s[12:13]
	s_mov_b32 s13, 0x3c5871a5
	s_mov_b32 s12, 0xcf8c9ee1
	v_add_f64 v[10:11], v[10:11], -2.0
	v_fma_f64 v[14:15], v[10:11], s[12:13], v[14:15]
	s_mov_b32 s13, 0xbc5871a5
	v_fma_f64 v[16:17], v[10:11], v[14:15], s[12:13]
	s_mov_b32 s12, 0x41a8cdf4
	s_mov_b32 s13, 0x3c8e092e
	v_add_f64 v[16:17], v[16:17], s[12:13]
	s_mov_b32 s12, 0x74d77641
	s_mov_b32 s13, 0xbca82f94
	v_fma_f64 v[14:15], v[10:11], v[16:17], -v[14:15]
	v_add_f64 v[14:15], v[14:15], s[12:13]
	s_mov_b32 s12, 0x6b94785b
	s_mov_b32 s13, 0x3cc3dbf9
	v_fma_f64 v[16:17], v[10:11], v[14:15], -v[16:17]
	;; [unrolled: 4-line block ×17, first 2 shown]
	v_add_f64 v[14:15], v[14:15], s[12:13]
	s_mov_b32 s12, 0
	s_brev_b32 s13, 8
	v_cmp_gt_f64_e32 vcc, s[12:13], v[6:7]
	s_mov_b32 s12, 0xcc7470a9
	s_mov_b32 s13, 0x3eed413f
	v_fma_f64 v[16:17], v[10:11], v[14:15], -v[16:17]
	v_cndmask_b32_e32 v18, 0, v18, vcc
	v_ldexp_f64 v[6:7], v[6:7], v18
	v_add_f64 v[16:17], v[16:17], s[12:13]
	s_mov_b32 s12, 0xe7889f42
	s_mov_b32 s13, 0xbf20d797
	v_rsq_f64_e32 v[18:19], v[6:7]
	v_fma_f64 v[14:15], v[10:11], v[16:17], -v[14:15]
	v_add_f64 v[14:15], v[14:15], s[12:13]
	s_mov_b32 s12, 0xfca79342
	s_mov_b32 s13, 0x3f59b891
	v_mul_f64 v[20:21], v[6:7], v[18:19]
	v_mul_f64 v[18:19], v[18:19], 0.5
	v_fma_f64 v[16:17], v[10:11], v[14:15], -v[16:17]
	v_fma_f64 v[22:23], -v[18:19], v[20:21], 0.5
	v_add_f64 v[16:17], v[16:17], s[12:13]
	s_mov_b32 s12, 0x2d4ff71e
	s_mov_b32 s13, 0xbfa019f7
	v_fma_f64 v[20:21], v[20:21], v[22:23], v[20:21]
	v_fma_f64 v[18:19], v[18:19], v[22:23], v[18:19]
	v_fma_f64 v[14:15], v[10:11], v[16:17], -v[14:15]
	v_fma_f64 v[22:23], -v[20:21], v[20:21], v[6:7]
	v_add_f64 v[14:15], v[14:15], s[12:13]
	s_mov_b32 s12, 0x9f4e6907
	s_mov_b32 s13, 0x400385bd
	v_fma_f64 v[20:21], v[22:23], v[18:19], v[20:21]
	v_fma_f64 v[10:11], v[10:11], v[14:15], -v[16:17]
	v_fma_f64 v[14:15], -v[20:21], v[20:21], v[6:7]
	v_add_f64 v[10:11], v[10:11], s[12:13]
	v_fma_f64 v[14:15], v[14:15], v[18:19], v[20:21]
	v_add_f64 v[10:11], v[10:11], -v[16:17]
	v_mov_b32_e32 v16, 0xffffff80
	v_mov_b32_e32 v17, 0x260
	v_cndmask_b32_e32 v16, 0, v16, vcc
	v_cmp_class_f64_e32 vcc, v[6:7], v17
	v_ldexp_f64 v[14:15], v[14:15], v16
	v_mul_f64 v[10:11], v[10:11], 0.5
	v_cndmask_b32_e32 v7, v15, v7, vcc
	v_cndmask_b32_e32 v6, v14, v6, vcc
	v_div_scale_f64 v[14:15], s[12:13], v[6:7], v[6:7], v[10:11]
	v_div_scale_f64 v[20:21], vcc, v[10:11], v[6:7], v[10:11]
	v_rcp_f64_e32 v[16:17], v[14:15]
	v_fma_f64 v[18:19], -v[14:15], v[16:17], 1.0
	v_fma_f64 v[16:17], v[16:17], v[18:19], v[16:17]
	v_fma_f64 v[18:19], -v[14:15], v[16:17], 1.0
	v_fma_f64 v[16:17], v[16:17], v[18:19], v[16:17]
	v_mul_f64 v[18:19], v[20:21], v[16:17]
	v_fma_f64 v[14:15], -v[14:15], v[18:19], v[20:21]
	v_div_fmas_f64 v[14:15], v[14:15], v[16:17], v[18:19]
	v_div_fixup_f64 v[10:11], v[14:15], v[6:7], v[10:11]
.LBB1_22:
	s_or_b64 exec, exec, s[4:5]
.LBB1_23:
	s_or_b64 exec, exec, s[10:11]
.LBB1_24:
	s_or_b64 exec, exec, s[8:9]
	v_cmp_neq_f64_e32 vcc, 0, v[8:9]
	s_and_saveexec_b64 s[8:9], vcc
	s_cbranch_execz .LBB1_32
; %bb.25:
	v_cmp_ngt_f64_e32 vcc, 0, v[8:9]
	v_mov_b32_e32 v12, 0
	v_mov_b32_e32 v13, 0x7ff80000
	s_and_saveexec_b64 s[10:11], vcc
	s_cbranch_execz .LBB1_31
; %bb.26:
	v_cmp_ge_f64_e32 vcc, 2.0, v[8:9]
	s_and_saveexec_b64 s[4:5], vcc
	s_xor_b64 s[12:13], exec, s[4:5]
	s_cbranch_execz .LBB1_28
; %bb.27:
	v_fma_f64 v[6:7], v[8:9], v[8:9], -2.0
	v_mov_b32_e32 v12, 0xc384c2aa
	v_mov_b32_e32 v13, 0x3d27fb0a
	s_mov_b32 s5, 0x3ca3cee1
	s_mov_b32 s4, 0xe6a7fd77
	s_mov_b32 s14, 0xbf559e2b
	s_mov_b32 s15, 0x3fc3ab76
	s_mov_b32 s17, 0x3c7abc9e
	v_fma_f64 v[12:13], v[6:7], s[4:5], v[12:13]
	s_mov_b32 s5, 0xbca3cee1
	s_mov_b32 s16, 0x3b39803f
	v_fma_f64 v[14:15], v[6:7], v[12:13], s[4:5]
	s_mov_b32 s4, 0x47512144
	s_mov_b32 s5, 0x3da6c25c
	v_add_f64 v[14:15], v[14:15], s[4:5]
	s_mov_b32 s4, 0x67e58a13
	s_mov_b32 s5, 0x3e205c13
	v_fma_f64 v[12:13], v[6:7], v[14:15], -v[12:13]
	v_add_f64 v[12:13], v[12:13], s[4:5]
	s_mov_b32 s4, 0xe7f95efc
	s_mov_b32 s5, 0x3e9102bc
	v_fma_f64 v[14:15], v[6:7], v[12:13], -v[14:15]
	;; [unrolled: 4-line block ×7, first 2 shown]
	v_add_f64 v[6:7], v[6:7], s[4:5]
	s_mov_b32 s5, 0x3fe55555
	s_mov_b32 s4, 0x55555555
	v_add_f64 v[6:7], v[6:7], -v[12:13]
	v_mul_f64 v[12:13], v[8:9], 0.5
	v_frexp_mant_f64_e32 v[14:15], v[12:13]
	v_frexp_exp_i32_f64_e32 v16, v[12:13]
	v_cmp_gt_f64_e32 vcc, s[4:5], v[14:15]
	s_mov_b32 s4, 0x55555780
	v_cndmask_b32_e64 v17, 0, 1, vcc
	v_ldexp_f64 v[14:15], v[14:15], v17
	v_subbrev_co_u32_e32 v29, vcc, 0, v16, vcc
	v_add_f64 v[18:19], v[14:15], 1.0
	v_add_f64 v[16:17], v[14:15], -1.0
	v_add_f64 v[20:21], v[18:19], -1.0
	v_add_f64 v[14:15], v[14:15], -v[20:21]
	v_rcp_f64_e32 v[20:21], v[18:19]
	v_fma_f64 v[22:23], -v[18:19], v[20:21], 1.0
	v_fma_f64 v[20:21], v[22:23], v[20:21], v[20:21]
	v_fma_f64 v[22:23], -v[18:19], v[20:21], 1.0
	v_fma_f64 v[20:21], v[22:23], v[20:21], v[20:21]
	v_mul_f64 v[22:23], v[16:17], v[20:21]
	v_mul_f64 v[24:25], v[18:19], v[22:23]
	v_fma_f64 v[18:19], v[22:23], v[18:19], -v[24:25]
	v_fma_f64 v[14:15], v[22:23], v[14:15], v[18:19]
	v_add_f64 v[18:19], v[24:25], v[14:15]
	v_add_f64 v[27:28], v[16:17], -v[18:19]
	v_add_f64 v[24:25], v[18:19], -v[24:25]
	;; [unrolled: 1-line block ×5, first 2 shown]
	v_add_f64 v[14:15], v[14:15], v[16:17]
	v_add_f64 v[14:15], v[27:28], v[14:15]
	v_mul_f64 v[14:15], v[20:21], v[14:15]
	v_mov_b32_e32 v20, 0x6b47b09a
	v_mov_b32_e32 v21, 0x3fc38538
	v_add_f64 v[16:17], v[22:23], v[14:15]
	v_add_f64 v[18:19], v[16:17], -v[22:23]
	v_ldexp_f64 v[22:23], v[16:17], 1
	v_add_f64 v[14:15], v[14:15], -v[18:19]
	v_mul_f64 v[18:19], v[16:17], v[16:17]
	v_ldexp_f64 v[14:15], v[14:15], 1
	v_fma_f64 v[20:21], v[18:19], s[14:15], v[20:21]
	s_mov_b32 s14, 0xd7f4df2e
	s_mov_b32 s15, 0x3fc7474d
	v_mul_f64 v[16:17], v[16:17], v[18:19]
	v_fma_f64 v[20:21], v[18:19], v[20:21], s[14:15]
	s_mov_b32 s14, 0x16291751
	s_mov_b32 s15, 0x3fcc71c0
	v_fma_f64 v[20:21], v[18:19], v[20:21], s[14:15]
	s_mov_b32 s14, 0x9b27acf1
	s_mov_b32 s15, 0x3fd24924
	;; [unrolled: 3-line block ×5, first 2 shown]
	v_cmp_neq_f64_e32 vcc, s[4:5], v[12:13]
	v_cmp_neq_f64_e64 s[4:5], 0, v[12:13]
	v_mov_b32_e32 v13, 0xfff00000
	v_mul_f64 v[16:17], v[16:17], v[20:21]
	v_add_f64 v[18:19], v[22:23], v[16:17]
	v_add_f64 v[20:21], v[18:19], -v[22:23]
	v_add_f64 v[16:17], v[16:17], -v[20:21]
	v_add_f64 v[14:15], v[14:15], v[16:17]
	v_add_f64 v[16:17], v[18:19], v[14:15]
	v_add_f64 v[18:19], v[16:17], -v[18:19]
	v_add_f64 v[14:15], v[14:15], -v[18:19]
	v_cvt_f64_i32_e32 v[18:19], v29
	v_mul_f64 v[20:21], v[18:19], s[14:15]
	v_fma_f64 v[22:23], v[18:19], s[14:15], -v[20:21]
	s_mov_b32 s15, 0xbfe62e42
	v_fma_f64 v[18:19], v[18:19], s[16:17], v[22:23]
	s_mov_b32 s17, 0xbc7abc9e
	v_add_f64 v[22:23], v[20:21], v[18:19]
	v_add_f64 v[20:21], v[22:23], -v[20:21]
	v_add_f64 v[18:19], v[18:19], -v[20:21]
	v_add_f64 v[20:21], v[22:23], v[16:17]
	v_add_f64 v[24:25], v[20:21], -v[22:23]
	v_add_f64 v[27:28], v[20:21], -v[24:25]
	;; [unrolled: 1-line block ×4, first 2 shown]
	v_add_f64 v[16:17], v[16:17], v[22:23]
	v_add_f64 v[22:23], v[18:19], v[14:15]
	v_add_f64 v[24:25], v[22:23], -v[18:19]
	v_add_f64 v[16:17], v[22:23], v[16:17]
	v_add_f64 v[27:28], v[22:23], -v[24:25]
	v_add_f64 v[14:15], v[14:15], -v[24:25]
	;; [unrolled: 1-line block ×3, first 2 shown]
	v_add_f64 v[14:15], v[14:15], v[18:19]
	v_add_f64 v[18:19], v[20:21], v[16:17]
	v_add_f64 v[20:21], v[18:19], -v[20:21]
	v_add_f64 v[16:17], v[16:17], -v[20:21]
	v_add_f64 v[14:15], v[14:15], v[16:17]
	v_mov_b32_e32 v16, 0x7ff00000
	v_add_f64 v[14:15], v[18:19], v[14:15]
	v_mov_b32_e32 v18, 0xfca7ab0c
	v_mov_b32_e32 v19, 0x3e928af3
	v_cndmask_b32_e32 v15, v16, v15, vcc
	s_and_b64 vcc, s[4:5], vcc
	v_cndmask_b32_e64 v13, v13, v15, s[4:5]
	s_mov_b32 s4, 0x652b82fe
	s_mov_b32 s5, 0x3ff71547
	v_cndmask_b32_e32 v12, 0, v14, vcc
	v_mul_f64 v[14:15], v[8:9], s[4:5]
	s_mov_b32 s4, 0x6a5dcb37
	s_mov_b32 s5, 0x3e5ade15
	v_rndne_f64_e32 v[14:15], v[14:15]
	v_fma_f64 v[16:17], v[14:15], s[14:15], v[8:9]
	v_fma_f64 v[8:9], v[8:9], 0.5, -2.0
	v_fma_f64 v[16:17], v[14:15], s[16:17], v[16:17]
	v_cvt_i32_f64_e32 v14, v[14:15]
	v_fma_f64 v[18:19], v[16:17], s[4:5], v[18:19]
	s_mov_b32 s4, 0x623fde64
	s_mov_b32 s5, 0x3ec71dee
	v_fma_f64 v[18:19], v[16:17], v[18:19], s[4:5]
	s_mov_b32 s4, 0x7c89e6b0
	s_mov_b32 s5, 0x3efa0199
	v_fma_f64 v[18:19], v[16:17], v[18:19], s[4:5]
	s_mov_b32 s4, 0x14761f6e
	s_mov_b32 s5, 0x3f2a01a0
	v_fma_f64 v[18:19], v[16:17], v[18:19], s[4:5]
	s_mov_b32 s4, 0x1852b7b0
	s_mov_b32 s5, 0x3f56c16c
	v_fma_f64 v[18:19], v[16:17], v[18:19], s[4:5]
	s_mov_b32 s4, 0x11122322
	s_mov_b32 s5, 0x3f811111
	v_fma_f64 v[18:19], v[16:17], v[18:19], s[4:5]
	s_mov_b32 s4, 0x555502a1
	s_mov_b32 s5, 0x3fa55555
	v_fma_f64 v[18:19], v[16:17], v[18:19], s[4:5]
	s_mov_b32 s4, 0x55555511
	s_mov_b32 s5, 0x3fc55555
	v_fma_f64 v[18:19], v[16:17], v[18:19], s[4:5]
	s_mov_b32 s4, 11
	s_mov_b32 s5, 0x3fe00000
	v_fma_f64 v[18:19], v[16:17], v[18:19], s[4:5]
	s_mov_b32 s5, 0xbc545cb7
	s_mov_b32 s4, 0x2134d0ef
	v_fma_f64 v[18:19], v[16:17], v[18:19], 1.0
	v_fma_f64 v[16:17], v[16:17], v[18:19], 1.0
	v_ldexp_f64 v[14:15], v[16:17], v14
	v_mov_b32_e32 v16, 0x977da589
	v_mov_b32_e32 v17, 0x3c833362
	v_fma_f64 v[16:17], v[8:9], s[4:5], v[16:17]
	s_mov_b32 s5, 0x3c545cb7
	v_fma_f64 v[18:19], v[8:9], v[16:17], s[4:5]
	s_mov_b32 s4, 0x721ebbb4
	s_mov_b32 s5, 0xbcb184eb
	v_add_f64 v[18:19], v[18:19], s[4:5]
	s_mov_b32 s4, 0x93f65eba
	s_mov_b32 s5, 0x3cdee6d8
	v_fma_f64 v[16:17], v[8:9], v[18:19], -v[16:17]
	v_add_f64 v[16:17], v[16:17], s[4:5]
	s_mov_b32 s4, 0xc297fbeb
	s_mov_b32 s5, 0xbd0a5022
	v_fma_f64 v[18:19], v[8:9], v[16:17], -v[18:19]
	;; [unrolled: 4-line block ×27, first 2 shown]
	v_add_f64 v[8:9], v[8:9], s[4:5]
	v_add_f64 v[8:9], v[8:9], -v[16:17]
	v_mul_f64 v[8:9], v[8:9], 0.5
	v_mul_f64 v[8:9], v[14:15], v[8:9]
	v_mul_f64 v[8:9], v[12:13], v[8:9]
	v_fma_f64 v[6:7], v[6:7], 0.5, -v[8:9]
                                        ; implicit-def: $vgpr8_vgpr9
	v_mul_f64 v[12:13], v[14:15], v[6:7]
.LBB1_28:
	s_andn2_saveexec_b64 s[4:5], s[12:13]
	s_cbranch_execz .LBB1_30
; %bb.29:
	s_mov_b32 s12, 0
	s_mov_b32 s13, 0x40200000
	v_div_scale_f64 v[6:7], s[14:15], v[8:9], v[8:9], s[12:13]
	v_rcp_f64_e32 v[12:13], v[6:7]
	v_fma_f64 v[14:15], -v[6:7], v[12:13], 1.0
	v_fma_f64 v[12:13], v[12:13], v[14:15], v[12:13]
	v_div_scale_f64 v[14:15], vcc, s[12:13], v[8:9], s[12:13]
	v_fma_f64 v[16:17], -v[6:7], v[12:13], 1.0
	v_fma_f64 v[12:13], v[12:13], v[16:17], v[12:13]
	v_mul_f64 v[16:17], v[14:15], v[12:13]
	v_fma_f64 v[6:7], -v[6:7], v[16:17], v[14:15]
	v_div_fmas_f64 v[6:7], v[6:7], v[12:13], v[16:17]
	v_mov_b32_e32 v12, 0x93812603
	v_mov_b32_e32 v13, 0xbc72fecc
	;; [unrolled: 1-line block ×3, first 2 shown]
	v_div_fixup_f64 v[6:7], v[6:7], v[8:9], s[12:13]
	s_mov_b32 s13, 0x3c5871a5
	s_mov_b32 s12, 0xcf8c9ee1
	v_add_f64 v[6:7], v[6:7], -2.0
	v_fma_f64 v[12:13], v[6:7], s[12:13], v[12:13]
	s_mov_b32 s13, 0xbc5871a5
	v_fma_f64 v[14:15], v[6:7], v[12:13], s[12:13]
	s_mov_b32 s12, 0x41a8cdf4
	s_mov_b32 s13, 0x3c8e092e
	v_add_f64 v[14:15], v[14:15], s[12:13]
	s_mov_b32 s12, 0x74d77641
	s_mov_b32 s13, 0xbca82f94
	v_fma_f64 v[12:13], v[6:7], v[14:15], -v[12:13]
	v_add_f64 v[12:13], v[12:13], s[12:13]
	s_mov_b32 s12, 0x6b94785b
	s_mov_b32 s13, 0x3cc3dbf9
	v_fma_f64 v[14:15], v[6:7], v[12:13], -v[14:15]
	;; [unrolled: 4-line block ×17, first 2 shown]
	v_add_f64 v[12:13], v[12:13], s[12:13]
	s_mov_b32 s12, 0
	s_brev_b32 s13, 8
	v_cmp_gt_f64_e32 vcc, s[12:13], v[8:9]
	s_mov_b32 s12, 0xcc7470a9
	s_mov_b32 s13, 0x3eed413f
	v_fma_f64 v[14:15], v[6:7], v[12:13], -v[14:15]
	v_cndmask_b32_e32 v16, 0, v16, vcc
	v_ldexp_f64 v[8:9], v[8:9], v16
	v_add_f64 v[14:15], v[14:15], s[12:13]
	s_mov_b32 s12, 0xe7889f42
	s_mov_b32 s13, 0xbf20d797
	v_rsq_f64_e32 v[16:17], v[8:9]
	v_fma_f64 v[12:13], v[6:7], v[14:15], -v[12:13]
	v_add_f64 v[12:13], v[12:13], s[12:13]
	s_mov_b32 s12, 0xfca79342
	s_mov_b32 s13, 0x3f59b891
	v_mul_f64 v[18:19], v[8:9], v[16:17]
	v_mul_f64 v[16:17], v[16:17], 0.5
	v_fma_f64 v[14:15], v[6:7], v[12:13], -v[14:15]
	v_fma_f64 v[20:21], -v[16:17], v[18:19], 0.5
	v_add_f64 v[14:15], v[14:15], s[12:13]
	s_mov_b32 s12, 0x2d4ff71e
	s_mov_b32 s13, 0xbfa019f7
	v_fma_f64 v[18:19], v[18:19], v[20:21], v[18:19]
	v_fma_f64 v[16:17], v[16:17], v[20:21], v[16:17]
	v_fma_f64 v[12:13], v[6:7], v[14:15], -v[12:13]
	v_fma_f64 v[20:21], -v[18:19], v[18:19], v[8:9]
	v_add_f64 v[12:13], v[12:13], s[12:13]
	s_mov_b32 s12, 0x9f4e6907
	s_mov_b32 s13, 0x400385bd
	v_fma_f64 v[18:19], v[20:21], v[16:17], v[18:19]
	v_fma_f64 v[6:7], v[6:7], v[12:13], -v[14:15]
	v_fma_f64 v[12:13], -v[18:19], v[18:19], v[8:9]
	v_add_f64 v[6:7], v[6:7], s[12:13]
	v_fma_f64 v[12:13], v[12:13], v[16:17], v[18:19]
	v_add_f64 v[6:7], v[6:7], -v[14:15]
	v_mov_b32_e32 v14, 0xffffff80
	v_mov_b32_e32 v15, 0x260
	v_cndmask_b32_e32 v14, 0, v14, vcc
	v_cmp_class_f64_e32 vcc, v[8:9], v15
	v_ldexp_f64 v[12:13], v[12:13], v14
	v_mul_f64 v[6:7], v[6:7], 0.5
	v_cndmask_b32_e32 v9, v13, v9, vcc
	v_cndmask_b32_e32 v8, v12, v8, vcc
	v_div_scale_f64 v[12:13], s[12:13], v[8:9], v[8:9], v[6:7]
	v_div_scale_f64 v[18:19], vcc, v[6:7], v[8:9], v[6:7]
	v_rcp_f64_e32 v[14:15], v[12:13]
	v_fma_f64 v[16:17], -v[12:13], v[14:15], 1.0
	v_fma_f64 v[14:15], v[14:15], v[16:17], v[14:15]
	v_fma_f64 v[16:17], -v[12:13], v[14:15], 1.0
	v_fma_f64 v[14:15], v[14:15], v[16:17], v[14:15]
	v_mul_f64 v[16:17], v[18:19], v[14:15]
	v_fma_f64 v[12:13], -v[12:13], v[16:17], v[18:19]
	v_div_fmas_f64 v[12:13], v[12:13], v[14:15], v[16:17]
	v_div_fixup_f64 v[12:13], v[12:13], v[8:9], v[6:7]
.LBB1_30:
	s_or_b64 exec, exec, s[4:5]
.LBB1_31:
	s_or_b64 exec, exec, s[10:11]
.LBB1_32:
	s_or_b64 exec, exec, s[8:9]
	v_mov_b32_e32 v6, s7
	v_add_co_u32_e32 v0, vcc, s6, v0
	v_addc_co_u32_e32 v1, vcc, v1, v6, vcc
	v_add_co_u32_e32 v0, vcc, v0, v26
	v_addc_co_u32_e32 v1, vcc, 0, v1, vcc
	flat_store_dwordx4 v[0:1], v[2:5]
	flat_store_dwordx4 v[0:1], v[10:13] offset:16
	s_waitcnt vmcnt(0) lgkmcnt(0)
	s_setpc_b64 s[30:31]
.Lfunc_end1:
	.size	_ZN2at6native25elementwise_kernel_helperILb0EZZZNS0_12_GLOBAL__N_137scaled_modified_bessel_k0_kernel_cudaERNS_18TensorIteratorBaseEENKUlvE_clEvENKUlvE_clEvEUldE_NS0_6memory8policies10vectorizedILi4ESt5arrayIPcLm2EELi4EEEEEvT0_T1_, .Lfunc_end1-_ZN2at6native25elementwise_kernel_helperILb0EZZZNS0_12_GLOBAL__N_137scaled_modified_bessel_k0_kernel_cudaERNS_18TensorIteratorBaseEENKUlvE_clEvENKUlvE_clEvEUldE_NS0_6memory8policies10vectorizedILi4ESt5arrayIPcLm2EELi4EEEEEvT0_T1_
                                        ; -- End function
	.set .L_ZN2at6native25elementwise_kernel_helperILb0EZZZNS0_12_GLOBAL__N_137scaled_modified_bessel_k0_kernel_cudaERNS_18TensorIteratorBaseEENKUlvE_clEvENKUlvE_clEvEUldE_NS0_6memory8policies10vectorizedILi4ESt5arrayIPcLm2EELi4EEEEEvT0_T1_.num_vgpr, 33
	.set .L_ZN2at6native25elementwise_kernel_helperILb0EZZZNS0_12_GLOBAL__N_137scaled_modified_bessel_k0_kernel_cudaERNS_18TensorIteratorBaseEENKUlvE_clEvENKUlvE_clEvEUldE_NS0_6memory8policies10vectorizedILi4ESt5arrayIPcLm2EELi4EEEEEvT0_T1_.num_agpr, 0
	.set .L_ZN2at6native25elementwise_kernel_helperILb0EZZZNS0_12_GLOBAL__N_137scaled_modified_bessel_k0_kernel_cudaERNS_18TensorIteratorBaseEENKUlvE_clEvENKUlvE_clEvEUldE_NS0_6memory8policies10vectorizedILi4ESt5arrayIPcLm2EELi4EEEEEvT0_T1_.numbered_sgpr, 32
	.set .L_ZN2at6native25elementwise_kernel_helperILb0EZZZNS0_12_GLOBAL__N_137scaled_modified_bessel_k0_kernel_cudaERNS_18TensorIteratorBaseEENKUlvE_clEvENKUlvE_clEvEUldE_NS0_6memory8policies10vectorizedILi4ESt5arrayIPcLm2EELi4EEEEEvT0_T1_.num_named_barrier, 0
	.set .L_ZN2at6native25elementwise_kernel_helperILb0EZZZNS0_12_GLOBAL__N_137scaled_modified_bessel_k0_kernel_cudaERNS_18TensorIteratorBaseEENKUlvE_clEvENKUlvE_clEvEUldE_NS0_6memory8policies10vectorizedILi4ESt5arrayIPcLm2EELi4EEEEEvT0_T1_.private_seg_size, 0
	.set .L_ZN2at6native25elementwise_kernel_helperILb0EZZZNS0_12_GLOBAL__N_137scaled_modified_bessel_k0_kernel_cudaERNS_18TensorIteratorBaseEENKUlvE_clEvENKUlvE_clEvEUldE_NS0_6memory8policies10vectorizedILi4ESt5arrayIPcLm2EELi4EEEEEvT0_T1_.uses_vcc, 1
	.set .L_ZN2at6native25elementwise_kernel_helperILb0EZZZNS0_12_GLOBAL__N_137scaled_modified_bessel_k0_kernel_cudaERNS_18TensorIteratorBaseEENKUlvE_clEvENKUlvE_clEvEUldE_NS0_6memory8policies10vectorizedILi4ESt5arrayIPcLm2EELi4EEEEEvT0_T1_.uses_flat_scratch, 0
	.set .L_ZN2at6native25elementwise_kernel_helperILb0EZZZNS0_12_GLOBAL__N_137scaled_modified_bessel_k0_kernel_cudaERNS_18TensorIteratorBaseEENKUlvE_clEvENKUlvE_clEvEUldE_NS0_6memory8policies10vectorizedILi4ESt5arrayIPcLm2EELi4EEEEEvT0_T1_.has_dyn_sized_stack, 0
	.set .L_ZN2at6native25elementwise_kernel_helperILb0EZZZNS0_12_GLOBAL__N_137scaled_modified_bessel_k0_kernel_cudaERNS_18TensorIteratorBaseEENKUlvE_clEvENKUlvE_clEvEUldE_NS0_6memory8policies10vectorizedILi4ESt5arrayIPcLm2EELi4EEEEEvT0_T1_.has_recursion, 0
	.set .L_ZN2at6native25elementwise_kernel_helperILb0EZZZNS0_12_GLOBAL__N_137scaled_modified_bessel_k0_kernel_cudaERNS_18TensorIteratorBaseEENKUlvE_clEvENKUlvE_clEvEUldE_NS0_6memory8policies10vectorizedILi4ESt5arrayIPcLm2EELi4EEEEEvT0_T1_.has_indirect_call, 0
	.section	.AMDGPU.csdata,"",@progbits
; Function info:
; codeLenInByte = 14688
; TotalNumSgprs: 36
; NumVgprs: 33
; ScratchSize: 0
; MemoryBound: 0
	.section	.text._ZN2at6native29vectorized_elementwise_kernelILi16EZZZNS0_12_GLOBAL__N_137scaled_modified_bessel_k0_kernel_cudaERNS_18TensorIteratorBaseEENKUlvE_clEvENKUlvE_clEvEUldE_St5arrayIPcLm2EEEEviT0_T1_,"axG",@progbits,_ZN2at6native29vectorized_elementwise_kernelILi16EZZZNS0_12_GLOBAL__N_137scaled_modified_bessel_k0_kernel_cudaERNS_18TensorIteratorBaseEENKUlvE_clEvENKUlvE_clEvEUldE_St5arrayIPcLm2EEEEviT0_T1_,comdat
	.globl	_ZN2at6native29vectorized_elementwise_kernelILi16EZZZNS0_12_GLOBAL__N_137scaled_modified_bessel_k0_kernel_cudaERNS_18TensorIteratorBaseEENKUlvE_clEvENKUlvE_clEvEUldE_St5arrayIPcLm2EEEEviT0_T1_ ; -- Begin function _ZN2at6native29vectorized_elementwise_kernelILi16EZZZNS0_12_GLOBAL__N_137scaled_modified_bessel_k0_kernel_cudaERNS_18TensorIteratorBaseEENKUlvE_clEvENKUlvE_clEvEUldE_St5arrayIPcLm2EEEEviT0_T1_
	.p2align	8
	.type	_ZN2at6native29vectorized_elementwise_kernelILi16EZZZNS0_12_GLOBAL__N_137scaled_modified_bessel_k0_kernel_cudaERNS_18TensorIteratorBaseEENKUlvE_clEvENKUlvE_clEvEUldE_St5arrayIPcLm2EEEEviT0_T1_,@function
_ZN2at6native29vectorized_elementwise_kernelILi16EZZZNS0_12_GLOBAL__N_137scaled_modified_bessel_k0_kernel_cudaERNS_18TensorIteratorBaseEENKUlvE_clEvENKUlvE_clEvEUldE_St5arrayIPcLm2EEEEviT0_T1_: ; @_ZN2at6native29vectorized_elementwise_kernelILi16EZZZNS0_12_GLOBAL__N_137scaled_modified_bessel_k0_kernel_cudaERNS_18TensorIteratorBaseEENKUlvE_clEvENKUlvE_clEvEUldE_St5arrayIPcLm2EEEEviT0_T1_
; %bb.0:
	s_mov_b32 s20, s6
	s_load_dword s6, s[4:5], 0x0
	s_load_dwordx4 s[24:27], s[4:5], 0x8
	s_add_u32 s0, s0, s7
	s_addc_u32 s1, s1, 0
	s_lshl_b32 s4, s20, 10
	s_waitcnt lgkmcnt(0)
	s_sub_i32 s21, s6, s4
	v_mov_b32_e32 v33, v0
	s_cmpk_gt_i32 s21, 0x3ff
	s_mov_b64 s[4:5], -1
	s_mov_b32 s32, 0
	s_cbranch_scc1 .LBB2_3
; %bb.1:
	s_andn2_b64 vcc, exec, s[4:5]
	s_cbranch_vccz .LBB2_4
.LBB2_2:
	s_endpgm
.LBB2_3:
	s_getpc_b64 s[4:5]
	s_add_u32 s4, s4, _ZN2at6native25elementwise_kernel_helperILb0EZZZNS0_12_GLOBAL__N_137scaled_modified_bessel_k0_kernel_cudaERNS_18TensorIteratorBaseEENKUlvE_clEvENKUlvE_clEvEUldE_NS0_6memory8policies10vectorizedILi4ESt5arrayIPcLm2EELi4EEEEEvT0_T1_@rel32@lo+4
	s_addc_u32 s5, s5, _ZN2at6native25elementwise_kernel_helperILb0EZZZNS0_12_GLOBAL__N_137scaled_modified_bessel_k0_kernel_cudaERNS_18TensorIteratorBaseEENKUlvE_clEvENKUlvE_clEvEUldE_NS0_6memory8policies10vectorizedILi4ESt5arrayIPcLm2EELi4EEEEEvT0_T1_@rel32@hi+12
	s_mov_b32 s12, s20
	v_mov_b32_e32 v31, v33
	v_mov_b32_e32 v0, s24
	;; [unrolled: 1-line block ×5, first 2 shown]
	s_swappc_b64 s[30:31], s[4:5]
	s_cbranch_execnz .LBB2_2
.LBB2_4:
	s_getpc_b64 s[4:5]
	s_add_u32 s4, s4, _ZN2at6native25elementwise_kernel_helperILb0EZZZNS0_12_GLOBAL__N_137scaled_modified_bessel_k0_kernel_cudaERNS_18TensorIteratorBaseEENKUlvE_clEvENKUlvE_clEvEUldE_NS0_6memory8policies11unroll_baseILi256ESt5arrayIPcLm2EE23TrivialOffsetCalculatorILi1EjESF_NS8_15LoadWithoutCastENS8_16StoreWithoutCastELi4ELi1EEEEEvT0_T1_@rel32@lo+4
	s_addc_u32 s5, s5, _ZN2at6native25elementwise_kernel_helperILb0EZZZNS0_12_GLOBAL__N_137scaled_modified_bessel_k0_kernel_cudaERNS_18TensorIteratorBaseEENKUlvE_clEvENKUlvE_clEvEUldE_NS0_6memory8policies11unroll_baseILi256ESt5arrayIPcLm2EE23TrivialOffsetCalculatorILi1EjESF_NS8_15LoadWithoutCastENS8_16StoreWithoutCastELi4ELi1EEEEEvT0_T1_@rel32@hi+12
	s_mov_b32 s12, s20
	v_mov_b32_e32 v31, v33
	v_mov_b32_e32 v0, s24
	;; [unrolled: 1-line block ×6, first 2 shown]
	s_swappc_b64 s[30:31], s[4:5]
	s_endpgm
	.section	.rodata,"a",@progbits
	.p2align	6, 0x0
	.amdhsa_kernel _ZN2at6native29vectorized_elementwise_kernelILi16EZZZNS0_12_GLOBAL__N_137scaled_modified_bessel_k0_kernel_cudaERNS_18TensorIteratorBaseEENKUlvE_clEvENKUlvE_clEvEUldE_St5arrayIPcLm2EEEEviT0_T1_
		.amdhsa_group_segment_fixed_size 0
		.amdhsa_private_segment_fixed_size 0
		.amdhsa_kernarg_size 24
		.amdhsa_user_sgpr_count 6
		.amdhsa_user_sgpr_private_segment_buffer 1
		.amdhsa_user_sgpr_dispatch_ptr 0
		.amdhsa_user_sgpr_queue_ptr 0
		.amdhsa_user_sgpr_kernarg_segment_ptr 1
		.amdhsa_user_sgpr_dispatch_id 0
		.amdhsa_user_sgpr_flat_scratch_init 0
		.amdhsa_user_sgpr_private_segment_size 0
		.amdhsa_uses_dynamic_stack 0
		.amdhsa_system_sgpr_private_segment_wavefront_offset 0
		.amdhsa_system_sgpr_workgroup_id_x 1
		.amdhsa_system_sgpr_workgroup_id_y 0
		.amdhsa_system_sgpr_workgroup_id_z 0
		.amdhsa_system_sgpr_workgroup_info 0
		.amdhsa_system_vgpr_workitem_id 0
		.amdhsa_next_free_vgpr 37
		.amdhsa_next_free_sgpr 33
		.amdhsa_reserve_vcc 1
		.amdhsa_reserve_flat_scratch 0
		.amdhsa_float_round_mode_32 0
		.amdhsa_float_round_mode_16_64 0
		.amdhsa_float_denorm_mode_32 3
		.amdhsa_float_denorm_mode_16_64 3
		.amdhsa_dx10_clamp 1
		.amdhsa_ieee_mode 1
		.amdhsa_fp16_overflow 0
		.amdhsa_exception_fp_ieee_invalid_op 0
		.amdhsa_exception_fp_denorm_src 0
		.amdhsa_exception_fp_ieee_div_zero 0
		.amdhsa_exception_fp_ieee_overflow 0
		.amdhsa_exception_fp_ieee_underflow 0
		.amdhsa_exception_fp_ieee_inexact 0
		.amdhsa_exception_int_div_zero 0
	.end_amdhsa_kernel
	.section	.text._ZN2at6native29vectorized_elementwise_kernelILi16EZZZNS0_12_GLOBAL__N_137scaled_modified_bessel_k0_kernel_cudaERNS_18TensorIteratorBaseEENKUlvE_clEvENKUlvE_clEvEUldE_St5arrayIPcLm2EEEEviT0_T1_,"axG",@progbits,_ZN2at6native29vectorized_elementwise_kernelILi16EZZZNS0_12_GLOBAL__N_137scaled_modified_bessel_k0_kernel_cudaERNS_18TensorIteratorBaseEENKUlvE_clEvENKUlvE_clEvEUldE_St5arrayIPcLm2EEEEviT0_T1_,comdat
.Lfunc_end2:
	.size	_ZN2at6native29vectorized_elementwise_kernelILi16EZZZNS0_12_GLOBAL__N_137scaled_modified_bessel_k0_kernel_cudaERNS_18TensorIteratorBaseEENKUlvE_clEvENKUlvE_clEvEUldE_St5arrayIPcLm2EEEEviT0_T1_, .Lfunc_end2-_ZN2at6native29vectorized_elementwise_kernelILi16EZZZNS0_12_GLOBAL__N_137scaled_modified_bessel_k0_kernel_cudaERNS_18TensorIteratorBaseEENKUlvE_clEvENKUlvE_clEvEUldE_St5arrayIPcLm2EEEEviT0_T1_
                                        ; -- End function
	.set _ZN2at6native29vectorized_elementwise_kernelILi16EZZZNS0_12_GLOBAL__N_137scaled_modified_bessel_k0_kernel_cudaERNS_18TensorIteratorBaseEENKUlvE_clEvENKUlvE_clEvEUldE_St5arrayIPcLm2EEEEviT0_T1_.num_vgpr, max(34, .L_ZN2at6native25elementwise_kernel_helperILb0EZZZNS0_12_GLOBAL__N_137scaled_modified_bessel_k0_kernel_cudaERNS_18TensorIteratorBaseEENKUlvE_clEvENKUlvE_clEvEUldE_NS0_6memory8policies10vectorizedILi4ESt5arrayIPcLm2EELi4EEEEEvT0_T1_.num_vgpr, .L_ZN2at6native25elementwise_kernel_helperILb0EZZZNS0_12_GLOBAL__N_137scaled_modified_bessel_k0_kernel_cudaERNS_18TensorIteratorBaseEENKUlvE_clEvENKUlvE_clEvEUldE_NS0_6memory8policies11unroll_baseILi256ESt5arrayIPcLm2EE23TrivialOffsetCalculatorILi1EjESF_NS8_15LoadWithoutCastENS8_16StoreWithoutCastELi4ELi1EEEEEvT0_T1_.num_vgpr)
	.set _ZN2at6native29vectorized_elementwise_kernelILi16EZZZNS0_12_GLOBAL__N_137scaled_modified_bessel_k0_kernel_cudaERNS_18TensorIteratorBaseEENKUlvE_clEvENKUlvE_clEvEUldE_St5arrayIPcLm2EEEEviT0_T1_.num_agpr, max(0, .L_ZN2at6native25elementwise_kernel_helperILb0EZZZNS0_12_GLOBAL__N_137scaled_modified_bessel_k0_kernel_cudaERNS_18TensorIteratorBaseEENKUlvE_clEvENKUlvE_clEvEUldE_NS0_6memory8policies10vectorizedILi4ESt5arrayIPcLm2EELi4EEEEEvT0_T1_.num_agpr, .L_ZN2at6native25elementwise_kernel_helperILb0EZZZNS0_12_GLOBAL__N_137scaled_modified_bessel_k0_kernel_cudaERNS_18TensorIteratorBaseEENKUlvE_clEvENKUlvE_clEvEUldE_NS0_6memory8policies11unroll_baseILi256ESt5arrayIPcLm2EE23TrivialOffsetCalculatorILi1EjESF_NS8_15LoadWithoutCastENS8_16StoreWithoutCastELi4ELi1EEEEEvT0_T1_.num_agpr)
	.set _ZN2at6native29vectorized_elementwise_kernelILi16EZZZNS0_12_GLOBAL__N_137scaled_modified_bessel_k0_kernel_cudaERNS_18TensorIteratorBaseEENKUlvE_clEvENKUlvE_clEvEUldE_St5arrayIPcLm2EEEEviT0_T1_.numbered_sgpr, max(33, .L_ZN2at6native25elementwise_kernel_helperILb0EZZZNS0_12_GLOBAL__N_137scaled_modified_bessel_k0_kernel_cudaERNS_18TensorIteratorBaseEENKUlvE_clEvENKUlvE_clEvEUldE_NS0_6memory8policies10vectorizedILi4ESt5arrayIPcLm2EELi4EEEEEvT0_T1_.numbered_sgpr, .L_ZN2at6native25elementwise_kernel_helperILb0EZZZNS0_12_GLOBAL__N_137scaled_modified_bessel_k0_kernel_cudaERNS_18TensorIteratorBaseEENKUlvE_clEvENKUlvE_clEvEUldE_NS0_6memory8policies11unroll_baseILi256ESt5arrayIPcLm2EE23TrivialOffsetCalculatorILi1EjESF_NS8_15LoadWithoutCastENS8_16StoreWithoutCastELi4ELi1EEEEEvT0_T1_.numbered_sgpr)
	.set _ZN2at6native29vectorized_elementwise_kernelILi16EZZZNS0_12_GLOBAL__N_137scaled_modified_bessel_k0_kernel_cudaERNS_18TensorIteratorBaseEENKUlvE_clEvENKUlvE_clEvEUldE_St5arrayIPcLm2EEEEviT0_T1_.num_named_barrier, max(0, .L_ZN2at6native25elementwise_kernel_helperILb0EZZZNS0_12_GLOBAL__N_137scaled_modified_bessel_k0_kernel_cudaERNS_18TensorIteratorBaseEENKUlvE_clEvENKUlvE_clEvEUldE_NS0_6memory8policies10vectorizedILi4ESt5arrayIPcLm2EELi4EEEEEvT0_T1_.num_named_barrier, .L_ZN2at6native25elementwise_kernel_helperILb0EZZZNS0_12_GLOBAL__N_137scaled_modified_bessel_k0_kernel_cudaERNS_18TensorIteratorBaseEENKUlvE_clEvENKUlvE_clEvEUldE_NS0_6memory8policies11unroll_baseILi256ESt5arrayIPcLm2EE23TrivialOffsetCalculatorILi1EjESF_NS8_15LoadWithoutCastENS8_16StoreWithoutCastELi4ELi1EEEEEvT0_T1_.num_named_barrier)
	.set _ZN2at6native29vectorized_elementwise_kernelILi16EZZZNS0_12_GLOBAL__N_137scaled_modified_bessel_k0_kernel_cudaERNS_18TensorIteratorBaseEENKUlvE_clEvENKUlvE_clEvEUldE_St5arrayIPcLm2EEEEviT0_T1_.private_seg_size, 0+max(.L_ZN2at6native25elementwise_kernel_helperILb0EZZZNS0_12_GLOBAL__N_137scaled_modified_bessel_k0_kernel_cudaERNS_18TensorIteratorBaseEENKUlvE_clEvENKUlvE_clEvEUldE_NS0_6memory8policies10vectorizedILi4ESt5arrayIPcLm2EELi4EEEEEvT0_T1_.private_seg_size, .L_ZN2at6native25elementwise_kernel_helperILb0EZZZNS0_12_GLOBAL__N_137scaled_modified_bessel_k0_kernel_cudaERNS_18TensorIteratorBaseEENKUlvE_clEvENKUlvE_clEvEUldE_NS0_6memory8policies11unroll_baseILi256ESt5arrayIPcLm2EE23TrivialOffsetCalculatorILi1EjESF_NS8_15LoadWithoutCastENS8_16StoreWithoutCastELi4ELi1EEEEEvT0_T1_.private_seg_size)
	.set _ZN2at6native29vectorized_elementwise_kernelILi16EZZZNS0_12_GLOBAL__N_137scaled_modified_bessel_k0_kernel_cudaERNS_18TensorIteratorBaseEENKUlvE_clEvENKUlvE_clEvEUldE_St5arrayIPcLm2EEEEviT0_T1_.uses_vcc, or(1, .L_ZN2at6native25elementwise_kernel_helperILb0EZZZNS0_12_GLOBAL__N_137scaled_modified_bessel_k0_kernel_cudaERNS_18TensorIteratorBaseEENKUlvE_clEvENKUlvE_clEvEUldE_NS0_6memory8policies10vectorizedILi4ESt5arrayIPcLm2EELi4EEEEEvT0_T1_.uses_vcc, .L_ZN2at6native25elementwise_kernel_helperILb0EZZZNS0_12_GLOBAL__N_137scaled_modified_bessel_k0_kernel_cudaERNS_18TensorIteratorBaseEENKUlvE_clEvENKUlvE_clEvEUldE_NS0_6memory8policies11unroll_baseILi256ESt5arrayIPcLm2EE23TrivialOffsetCalculatorILi1EjESF_NS8_15LoadWithoutCastENS8_16StoreWithoutCastELi4ELi1EEEEEvT0_T1_.uses_vcc)
	.set _ZN2at6native29vectorized_elementwise_kernelILi16EZZZNS0_12_GLOBAL__N_137scaled_modified_bessel_k0_kernel_cudaERNS_18TensorIteratorBaseEENKUlvE_clEvENKUlvE_clEvEUldE_St5arrayIPcLm2EEEEviT0_T1_.uses_flat_scratch, or(0, .L_ZN2at6native25elementwise_kernel_helperILb0EZZZNS0_12_GLOBAL__N_137scaled_modified_bessel_k0_kernel_cudaERNS_18TensorIteratorBaseEENKUlvE_clEvENKUlvE_clEvEUldE_NS0_6memory8policies10vectorizedILi4ESt5arrayIPcLm2EELi4EEEEEvT0_T1_.uses_flat_scratch, .L_ZN2at6native25elementwise_kernel_helperILb0EZZZNS0_12_GLOBAL__N_137scaled_modified_bessel_k0_kernel_cudaERNS_18TensorIteratorBaseEENKUlvE_clEvENKUlvE_clEvEUldE_NS0_6memory8policies11unroll_baseILi256ESt5arrayIPcLm2EE23TrivialOffsetCalculatorILi1EjESF_NS8_15LoadWithoutCastENS8_16StoreWithoutCastELi4ELi1EEEEEvT0_T1_.uses_flat_scratch)
	.set _ZN2at6native29vectorized_elementwise_kernelILi16EZZZNS0_12_GLOBAL__N_137scaled_modified_bessel_k0_kernel_cudaERNS_18TensorIteratorBaseEENKUlvE_clEvENKUlvE_clEvEUldE_St5arrayIPcLm2EEEEviT0_T1_.has_dyn_sized_stack, or(0, .L_ZN2at6native25elementwise_kernel_helperILb0EZZZNS0_12_GLOBAL__N_137scaled_modified_bessel_k0_kernel_cudaERNS_18TensorIteratorBaseEENKUlvE_clEvENKUlvE_clEvEUldE_NS0_6memory8policies10vectorizedILi4ESt5arrayIPcLm2EELi4EEEEEvT0_T1_.has_dyn_sized_stack, .L_ZN2at6native25elementwise_kernel_helperILb0EZZZNS0_12_GLOBAL__N_137scaled_modified_bessel_k0_kernel_cudaERNS_18TensorIteratorBaseEENKUlvE_clEvENKUlvE_clEvEUldE_NS0_6memory8policies11unroll_baseILi256ESt5arrayIPcLm2EE23TrivialOffsetCalculatorILi1EjESF_NS8_15LoadWithoutCastENS8_16StoreWithoutCastELi4ELi1EEEEEvT0_T1_.has_dyn_sized_stack)
	.set _ZN2at6native29vectorized_elementwise_kernelILi16EZZZNS0_12_GLOBAL__N_137scaled_modified_bessel_k0_kernel_cudaERNS_18TensorIteratorBaseEENKUlvE_clEvENKUlvE_clEvEUldE_St5arrayIPcLm2EEEEviT0_T1_.has_recursion, or(0, .L_ZN2at6native25elementwise_kernel_helperILb0EZZZNS0_12_GLOBAL__N_137scaled_modified_bessel_k0_kernel_cudaERNS_18TensorIteratorBaseEENKUlvE_clEvENKUlvE_clEvEUldE_NS0_6memory8policies10vectorizedILi4ESt5arrayIPcLm2EELi4EEEEEvT0_T1_.has_recursion, .L_ZN2at6native25elementwise_kernel_helperILb0EZZZNS0_12_GLOBAL__N_137scaled_modified_bessel_k0_kernel_cudaERNS_18TensorIteratorBaseEENKUlvE_clEvENKUlvE_clEvEUldE_NS0_6memory8policies11unroll_baseILi256ESt5arrayIPcLm2EE23TrivialOffsetCalculatorILi1EjESF_NS8_15LoadWithoutCastENS8_16StoreWithoutCastELi4ELi1EEEEEvT0_T1_.has_recursion)
	.set _ZN2at6native29vectorized_elementwise_kernelILi16EZZZNS0_12_GLOBAL__N_137scaled_modified_bessel_k0_kernel_cudaERNS_18TensorIteratorBaseEENKUlvE_clEvENKUlvE_clEvEUldE_St5arrayIPcLm2EEEEviT0_T1_.has_indirect_call, or(0, .L_ZN2at6native25elementwise_kernel_helperILb0EZZZNS0_12_GLOBAL__N_137scaled_modified_bessel_k0_kernel_cudaERNS_18TensorIteratorBaseEENKUlvE_clEvENKUlvE_clEvEUldE_NS0_6memory8policies10vectorizedILi4ESt5arrayIPcLm2EELi4EEEEEvT0_T1_.has_indirect_call, .L_ZN2at6native25elementwise_kernel_helperILb0EZZZNS0_12_GLOBAL__N_137scaled_modified_bessel_k0_kernel_cudaERNS_18TensorIteratorBaseEENKUlvE_clEvENKUlvE_clEvEUldE_NS0_6memory8policies11unroll_baseILi256ESt5arrayIPcLm2EE23TrivialOffsetCalculatorILi1EjESF_NS8_15LoadWithoutCastENS8_16StoreWithoutCastELi4ELi1EEEEEvT0_T1_.has_indirect_call)
	.section	.AMDGPU.csdata,"",@progbits
; Kernel info:
; codeLenInByte = 180
; TotalNumSgprs: 37
; NumVgprs: 37
; ScratchSize: 0
; MemoryBound: 0
; FloatMode: 240
; IeeeMode: 1
; LDSByteSize: 0 bytes/workgroup (compile time only)
; SGPRBlocks: 4
; VGPRBlocks: 9
; NumSGPRsForWavesPerEU: 37
; NumVGPRsForWavesPerEU: 37
; Occupancy: 6
; WaveLimiterHint : 0
; COMPUTE_PGM_RSRC2:SCRATCH_EN: 0
; COMPUTE_PGM_RSRC2:USER_SGPR: 6
; COMPUTE_PGM_RSRC2:TRAP_HANDLER: 0
; COMPUTE_PGM_RSRC2:TGID_X_EN: 1
; COMPUTE_PGM_RSRC2:TGID_Y_EN: 0
; COMPUTE_PGM_RSRC2:TGID_Z_EN: 0
; COMPUTE_PGM_RSRC2:TIDIG_COMP_CNT: 0
	.section	.text._ZN2at6native29vectorized_elementwise_kernelILi8EZZZNS0_12_GLOBAL__N_137scaled_modified_bessel_k0_kernel_cudaERNS_18TensorIteratorBaseEENKUlvE_clEvENKUlvE_clEvEUldE_St5arrayIPcLm2EEEEviT0_T1_,"axG",@progbits,_ZN2at6native29vectorized_elementwise_kernelILi8EZZZNS0_12_GLOBAL__N_137scaled_modified_bessel_k0_kernel_cudaERNS_18TensorIteratorBaseEENKUlvE_clEvENKUlvE_clEvEUldE_St5arrayIPcLm2EEEEviT0_T1_,comdat
	.globl	_ZN2at6native29vectorized_elementwise_kernelILi8EZZZNS0_12_GLOBAL__N_137scaled_modified_bessel_k0_kernel_cudaERNS_18TensorIteratorBaseEENKUlvE_clEvENKUlvE_clEvEUldE_St5arrayIPcLm2EEEEviT0_T1_ ; -- Begin function _ZN2at6native29vectorized_elementwise_kernelILi8EZZZNS0_12_GLOBAL__N_137scaled_modified_bessel_k0_kernel_cudaERNS_18TensorIteratorBaseEENKUlvE_clEvENKUlvE_clEvEUldE_St5arrayIPcLm2EEEEviT0_T1_
	.p2align	8
	.type	_ZN2at6native29vectorized_elementwise_kernelILi8EZZZNS0_12_GLOBAL__N_137scaled_modified_bessel_k0_kernel_cudaERNS_18TensorIteratorBaseEENKUlvE_clEvENKUlvE_clEvEUldE_St5arrayIPcLm2EEEEviT0_T1_,@function
_ZN2at6native29vectorized_elementwise_kernelILi8EZZZNS0_12_GLOBAL__N_137scaled_modified_bessel_k0_kernel_cudaERNS_18TensorIteratorBaseEENKUlvE_clEvENKUlvE_clEvEUldE_St5arrayIPcLm2EEEEviT0_T1_: ; @_ZN2at6native29vectorized_elementwise_kernelILi8EZZZNS0_12_GLOBAL__N_137scaled_modified_bessel_k0_kernel_cudaERNS_18TensorIteratorBaseEENKUlvE_clEvENKUlvE_clEvEUldE_St5arrayIPcLm2EEEEviT0_T1_
; %bb.0:
	s_mov_b32 s20, s6
	s_load_dword s6, s[4:5], 0x0
	s_load_dwordx4 s[24:27], s[4:5], 0x8
	s_add_u32 s0, s0, s7
	s_addc_u32 s1, s1, 0
	s_lshl_b32 s4, s20, 10
	s_waitcnt lgkmcnt(0)
	s_sub_i32 s21, s6, s4
	v_mov_b32_e32 v33, v0
	s_cmpk_gt_i32 s21, 0x3ff
	s_mov_b64 s[4:5], -1
	s_mov_b32 s32, 0
	s_cbranch_scc1 .LBB3_3
; %bb.1:
	s_andn2_b64 vcc, exec, s[4:5]
	s_cbranch_vccz .LBB3_4
.LBB3_2:
	s_endpgm
.LBB3_3:
	s_getpc_b64 s[4:5]
	s_add_u32 s4, s4, _ZN2at6native25elementwise_kernel_helperILb0EZZZNS0_12_GLOBAL__N_137scaled_modified_bessel_k0_kernel_cudaERNS_18TensorIteratorBaseEENKUlvE_clEvENKUlvE_clEvEUldE_NS0_6memory8policies10vectorizedILi4ESt5arrayIPcLm2EELi4EEEEEvT0_T1_@rel32@lo+4
	s_addc_u32 s5, s5, _ZN2at6native25elementwise_kernel_helperILb0EZZZNS0_12_GLOBAL__N_137scaled_modified_bessel_k0_kernel_cudaERNS_18TensorIteratorBaseEENKUlvE_clEvENKUlvE_clEvEUldE_NS0_6memory8policies10vectorizedILi4ESt5arrayIPcLm2EELi4EEEEEvT0_T1_@rel32@hi+12
	s_mov_b32 s12, s20
	v_mov_b32_e32 v31, v33
	v_mov_b32_e32 v0, s24
	;; [unrolled: 1-line block ×5, first 2 shown]
	s_swappc_b64 s[30:31], s[4:5]
	s_cbranch_execnz .LBB3_2
.LBB3_4:
	s_getpc_b64 s[4:5]
	s_add_u32 s4, s4, _ZN2at6native25elementwise_kernel_helperILb0EZZZNS0_12_GLOBAL__N_137scaled_modified_bessel_k0_kernel_cudaERNS_18TensorIteratorBaseEENKUlvE_clEvENKUlvE_clEvEUldE_NS0_6memory8policies11unroll_baseILi256ESt5arrayIPcLm2EE23TrivialOffsetCalculatorILi1EjESF_NS8_15LoadWithoutCastENS8_16StoreWithoutCastELi4ELi1EEEEEvT0_T1_@rel32@lo+4
	s_addc_u32 s5, s5, _ZN2at6native25elementwise_kernel_helperILb0EZZZNS0_12_GLOBAL__N_137scaled_modified_bessel_k0_kernel_cudaERNS_18TensorIteratorBaseEENKUlvE_clEvENKUlvE_clEvEUldE_NS0_6memory8policies11unroll_baseILi256ESt5arrayIPcLm2EE23TrivialOffsetCalculatorILi1EjESF_NS8_15LoadWithoutCastENS8_16StoreWithoutCastELi4ELi1EEEEEvT0_T1_@rel32@hi+12
	s_mov_b32 s12, s20
	v_mov_b32_e32 v31, v33
	v_mov_b32_e32 v0, s24
	;; [unrolled: 1-line block ×6, first 2 shown]
	s_swappc_b64 s[30:31], s[4:5]
	s_endpgm
	.section	.rodata,"a",@progbits
	.p2align	6, 0x0
	.amdhsa_kernel _ZN2at6native29vectorized_elementwise_kernelILi8EZZZNS0_12_GLOBAL__N_137scaled_modified_bessel_k0_kernel_cudaERNS_18TensorIteratorBaseEENKUlvE_clEvENKUlvE_clEvEUldE_St5arrayIPcLm2EEEEviT0_T1_
		.amdhsa_group_segment_fixed_size 0
		.amdhsa_private_segment_fixed_size 0
		.amdhsa_kernarg_size 24
		.amdhsa_user_sgpr_count 6
		.amdhsa_user_sgpr_private_segment_buffer 1
		.amdhsa_user_sgpr_dispatch_ptr 0
		.amdhsa_user_sgpr_queue_ptr 0
		.amdhsa_user_sgpr_kernarg_segment_ptr 1
		.amdhsa_user_sgpr_dispatch_id 0
		.amdhsa_user_sgpr_flat_scratch_init 0
		.amdhsa_user_sgpr_private_segment_size 0
		.amdhsa_uses_dynamic_stack 0
		.amdhsa_system_sgpr_private_segment_wavefront_offset 0
		.amdhsa_system_sgpr_workgroup_id_x 1
		.amdhsa_system_sgpr_workgroup_id_y 0
		.amdhsa_system_sgpr_workgroup_id_z 0
		.amdhsa_system_sgpr_workgroup_info 0
		.amdhsa_system_vgpr_workitem_id 0
		.amdhsa_next_free_vgpr 37
		.amdhsa_next_free_sgpr 33
		.amdhsa_reserve_vcc 1
		.amdhsa_reserve_flat_scratch 0
		.amdhsa_float_round_mode_32 0
		.amdhsa_float_round_mode_16_64 0
		.amdhsa_float_denorm_mode_32 3
		.amdhsa_float_denorm_mode_16_64 3
		.amdhsa_dx10_clamp 1
		.amdhsa_ieee_mode 1
		.amdhsa_fp16_overflow 0
		.amdhsa_exception_fp_ieee_invalid_op 0
		.amdhsa_exception_fp_denorm_src 0
		.amdhsa_exception_fp_ieee_div_zero 0
		.amdhsa_exception_fp_ieee_overflow 0
		.amdhsa_exception_fp_ieee_underflow 0
		.amdhsa_exception_fp_ieee_inexact 0
		.amdhsa_exception_int_div_zero 0
	.end_amdhsa_kernel
	.section	.text._ZN2at6native29vectorized_elementwise_kernelILi8EZZZNS0_12_GLOBAL__N_137scaled_modified_bessel_k0_kernel_cudaERNS_18TensorIteratorBaseEENKUlvE_clEvENKUlvE_clEvEUldE_St5arrayIPcLm2EEEEviT0_T1_,"axG",@progbits,_ZN2at6native29vectorized_elementwise_kernelILi8EZZZNS0_12_GLOBAL__N_137scaled_modified_bessel_k0_kernel_cudaERNS_18TensorIteratorBaseEENKUlvE_clEvENKUlvE_clEvEUldE_St5arrayIPcLm2EEEEviT0_T1_,comdat
.Lfunc_end3:
	.size	_ZN2at6native29vectorized_elementwise_kernelILi8EZZZNS0_12_GLOBAL__N_137scaled_modified_bessel_k0_kernel_cudaERNS_18TensorIteratorBaseEENKUlvE_clEvENKUlvE_clEvEUldE_St5arrayIPcLm2EEEEviT0_T1_, .Lfunc_end3-_ZN2at6native29vectorized_elementwise_kernelILi8EZZZNS0_12_GLOBAL__N_137scaled_modified_bessel_k0_kernel_cudaERNS_18TensorIteratorBaseEENKUlvE_clEvENKUlvE_clEvEUldE_St5arrayIPcLm2EEEEviT0_T1_
                                        ; -- End function
	.set _ZN2at6native29vectorized_elementwise_kernelILi8EZZZNS0_12_GLOBAL__N_137scaled_modified_bessel_k0_kernel_cudaERNS_18TensorIteratorBaseEENKUlvE_clEvENKUlvE_clEvEUldE_St5arrayIPcLm2EEEEviT0_T1_.num_vgpr, max(34, .L_ZN2at6native25elementwise_kernel_helperILb0EZZZNS0_12_GLOBAL__N_137scaled_modified_bessel_k0_kernel_cudaERNS_18TensorIteratorBaseEENKUlvE_clEvENKUlvE_clEvEUldE_NS0_6memory8policies10vectorizedILi4ESt5arrayIPcLm2EELi4EEEEEvT0_T1_.num_vgpr, .L_ZN2at6native25elementwise_kernel_helperILb0EZZZNS0_12_GLOBAL__N_137scaled_modified_bessel_k0_kernel_cudaERNS_18TensorIteratorBaseEENKUlvE_clEvENKUlvE_clEvEUldE_NS0_6memory8policies11unroll_baseILi256ESt5arrayIPcLm2EE23TrivialOffsetCalculatorILi1EjESF_NS8_15LoadWithoutCastENS8_16StoreWithoutCastELi4ELi1EEEEEvT0_T1_.num_vgpr)
	.set _ZN2at6native29vectorized_elementwise_kernelILi8EZZZNS0_12_GLOBAL__N_137scaled_modified_bessel_k0_kernel_cudaERNS_18TensorIteratorBaseEENKUlvE_clEvENKUlvE_clEvEUldE_St5arrayIPcLm2EEEEviT0_T1_.num_agpr, max(0, .L_ZN2at6native25elementwise_kernel_helperILb0EZZZNS0_12_GLOBAL__N_137scaled_modified_bessel_k0_kernel_cudaERNS_18TensorIteratorBaseEENKUlvE_clEvENKUlvE_clEvEUldE_NS0_6memory8policies10vectorizedILi4ESt5arrayIPcLm2EELi4EEEEEvT0_T1_.num_agpr, .L_ZN2at6native25elementwise_kernel_helperILb0EZZZNS0_12_GLOBAL__N_137scaled_modified_bessel_k0_kernel_cudaERNS_18TensorIteratorBaseEENKUlvE_clEvENKUlvE_clEvEUldE_NS0_6memory8policies11unroll_baseILi256ESt5arrayIPcLm2EE23TrivialOffsetCalculatorILi1EjESF_NS8_15LoadWithoutCastENS8_16StoreWithoutCastELi4ELi1EEEEEvT0_T1_.num_agpr)
	.set _ZN2at6native29vectorized_elementwise_kernelILi8EZZZNS0_12_GLOBAL__N_137scaled_modified_bessel_k0_kernel_cudaERNS_18TensorIteratorBaseEENKUlvE_clEvENKUlvE_clEvEUldE_St5arrayIPcLm2EEEEviT0_T1_.numbered_sgpr, max(33, .L_ZN2at6native25elementwise_kernel_helperILb0EZZZNS0_12_GLOBAL__N_137scaled_modified_bessel_k0_kernel_cudaERNS_18TensorIteratorBaseEENKUlvE_clEvENKUlvE_clEvEUldE_NS0_6memory8policies10vectorizedILi4ESt5arrayIPcLm2EELi4EEEEEvT0_T1_.numbered_sgpr, .L_ZN2at6native25elementwise_kernel_helperILb0EZZZNS0_12_GLOBAL__N_137scaled_modified_bessel_k0_kernel_cudaERNS_18TensorIteratorBaseEENKUlvE_clEvENKUlvE_clEvEUldE_NS0_6memory8policies11unroll_baseILi256ESt5arrayIPcLm2EE23TrivialOffsetCalculatorILi1EjESF_NS8_15LoadWithoutCastENS8_16StoreWithoutCastELi4ELi1EEEEEvT0_T1_.numbered_sgpr)
	.set _ZN2at6native29vectorized_elementwise_kernelILi8EZZZNS0_12_GLOBAL__N_137scaled_modified_bessel_k0_kernel_cudaERNS_18TensorIteratorBaseEENKUlvE_clEvENKUlvE_clEvEUldE_St5arrayIPcLm2EEEEviT0_T1_.num_named_barrier, max(0, .L_ZN2at6native25elementwise_kernel_helperILb0EZZZNS0_12_GLOBAL__N_137scaled_modified_bessel_k0_kernel_cudaERNS_18TensorIteratorBaseEENKUlvE_clEvENKUlvE_clEvEUldE_NS0_6memory8policies10vectorizedILi4ESt5arrayIPcLm2EELi4EEEEEvT0_T1_.num_named_barrier, .L_ZN2at6native25elementwise_kernel_helperILb0EZZZNS0_12_GLOBAL__N_137scaled_modified_bessel_k0_kernel_cudaERNS_18TensorIteratorBaseEENKUlvE_clEvENKUlvE_clEvEUldE_NS0_6memory8policies11unroll_baseILi256ESt5arrayIPcLm2EE23TrivialOffsetCalculatorILi1EjESF_NS8_15LoadWithoutCastENS8_16StoreWithoutCastELi4ELi1EEEEEvT0_T1_.num_named_barrier)
	.set _ZN2at6native29vectorized_elementwise_kernelILi8EZZZNS0_12_GLOBAL__N_137scaled_modified_bessel_k0_kernel_cudaERNS_18TensorIteratorBaseEENKUlvE_clEvENKUlvE_clEvEUldE_St5arrayIPcLm2EEEEviT0_T1_.private_seg_size, 0+max(.L_ZN2at6native25elementwise_kernel_helperILb0EZZZNS0_12_GLOBAL__N_137scaled_modified_bessel_k0_kernel_cudaERNS_18TensorIteratorBaseEENKUlvE_clEvENKUlvE_clEvEUldE_NS0_6memory8policies10vectorizedILi4ESt5arrayIPcLm2EELi4EEEEEvT0_T1_.private_seg_size, .L_ZN2at6native25elementwise_kernel_helperILb0EZZZNS0_12_GLOBAL__N_137scaled_modified_bessel_k0_kernel_cudaERNS_18TensorIteratorBaseEENKUlvE_clEvENKUlvE_clEvEUldE_NS0_6memory8policies11unroll_baseILi256ESt5arrayIPcLm2EE23TrivialOffsetCalculatorILi1EjESF_NS8_15LoadWithoutCastENS8_16StoreWithoutCastELi4ELi1EEEEEvT0_T1_.private_seg_size)
	.set _ZN2at6native29vectorized_elementwise_kernelILi8EZZZNS0_12_GLOBAL__N_137scaled_modified_bessel_k0_kernel_cudaERNS_18TensorIteratorBaseEENKUlvE_clEvENKUlvE_clEvEUldE_St5arrayIPcLm2EEEEviT0_T1_.uses_vcc, or(1, .L_ZN2at6native25elementwise_kernel_helperILb0EZZZNS0_12_GLOBAL__N_137scaled_modified_bessel_k0_kernel_cudaERNS_18TensorIteratorBaseEENKUlvE_clEvENKUlvE_clEvEUldE_NS0_6memory8policies10vectorizedILi4ESt5arrayIPcLm2EELi4EEEEEvT0_T1_.uses_vcc, .L_ZN2at6native25elementwise_kernel_helperILb0EZZZNS0_12_GLOBAL__N_137scaled_modified_bessel_k0_kernel_cudaERNS_18TensorIteratorBaseEENKUlvE_clEvENKUlvE_clEvEUldE_NS0_6memory8policies11unroll_baseILi256ESt5arrayIPcLm2EE23TrivialOffsetCalculatorILi1EjESF_NS8_15LoadWithoutCastENS8_16StoreWithoutCastELi4ELi1EEEEEvT0_T1_.uses_vcc)
	.set _ZN2at6native29vectorized_elementwise_kernelILi8EZZZNS0_12_GLOBAL__N_137scaled_modified_bessel_k0_kernel_cudaERNS_18TensorIteratorBaseEENKUlvE_clEvENKUlvE_clEvEUldE_St5arrayIPcLm2EEEEviT0_T1_.uses_flat_scratch, or(0, .L_ZN2at6native25elementwise_kernel_helperILb0EZZZNS0_12_GLOBAL__N_137scaled_modified_bessel_k0_kernel_cudaERNS_18TensorIteratorBaseEENKUlvE_clEvENKUlvE_clEvEUldE_NS0_6memory8policies10vectorizedILi4ESt5arrayIPcLm2EELi4EEEEEvT0_T1_.uses_flat_scratch, .L_ZN2at6native25elementwise_kernel_helperILb0EZZZNS0_12_GLOBAL__N_137scaled_modified_bessel_k0_kernel_cudaERNS_18TensorIteratorBaseEENKUlvE_clEvENKUlvE_clEvEUldE_NS0_6memory8policies11unroll_baseILi256ESt5arrayIPcLm2EE23TrivialOffsetCalculatorILi1EjESF_NS8_15LoadWithoutCastENS8_16StoreWithoutCastELi4ELi1EEEEEvT0_T1_.uses_flat_scratch)
	.set _ZN2at6native29vectorized_elementwise_kernelILi8EZZZNS0_12_GLOBAL__N_137scaled_modified_bessel_k0_kernel_cudaERNS_18TensorIteratorBaseEENKUlvE_clEvENKUlvE_clEvEUldE_St5arrayIPcLm2EEEEviT0_T1_.has_dyn_sized_stack, or(0, .L_ZN2at6native25elementwise_kernel_helperILb0EZZZNS0_12_GLOBAL__N_137scaled_modified_bessel_k0_kernel_cudaERNS_18TensorIteratorBaseEENKUlvE_clEvENKUlvE_clEvEUldE_NS0_6memory8policies10vectorizedILi4ESt5arrayIPcLm2EELi4EEEEEvT0_T1_.has_dyn_sized_stack, .L_ZN2at6native25elementwise_kernel_helperILb0EZZZNS0_12_GLOBAL__N_137scaled_modified_bessel_k0_kernel_cudaERNS_18TensorIteratorBaseEENKUlvE_clEvENKUlvE_clEvEUldE_NS0_6memory8policies11unroll_baseILi256ESt5arrayIPcLm2EE23TrivialOffsetCalculatorILi1EjESF_NS8_15LoadWithoutCastENS8_16StoreWithoutCastELi4ELi1EEEEEvT0_T1_.has_dyn_sized_stack)
	.set _ZN2at6native29vectorized_elementwise_kernelILi8EZZZNS0_12_GLOBAL__N_137scaled_modified_bessel_k0_kernel_cudaERNS_18TensorIteratorBaseEENKUlvE_clEvENKUlvE_clEvEUldE_St5arrayIPcLm2EEEEviT0_T1_.has_recursion, or(0, .L_ZN2at6native25elementwise_kernel_helperILb0EZZZNS0_12_GLOBAL__N_137scaled_modified_bessel_k0_kernel_cudaERNS_18TensorIteratorBaseEENKUlvE_clEvENKUlvE_clEvEUldE_NS0_6memory8policies10vectorizedILi4ESt5arrayIPcLm2EELi4EEEEEvT0_T1_.has_recursion, .L_ZN2at6native25elementwise_kernel_helperILb0EZZZNS0_12_GLOBAL__N_137scaled_modified_bessel_k0_kernel_cudaERNS_18TensorIteratorBaseEENKUlvE_clEvENKUlvE_clEvEUldE_NS0_6memory8policies11unroll_baseILi256ESt5arrayIPcLm2EE23TrivialOffsetCalculatorILi1EjESF_NS8_15LoadWithoutCastENS8_16StoreWithoutCastELi4ELi1EEEEEvT0_T1_.has_recursion)
	.set _ZN2at6native29vectorized_elementwise_kernelILi8EZZZNS0_12_GLOBAL__N_137scaled_modified_bessel_k0_kernel_cudaERNS_18TensorIteratorBaseEENKUlvE_clEvENKUlvE_clEvEUldE_St5arrayIPcLm2EEEEviT0_T1_.has_indirect_call, or(0, .L_ZN2at6native25elementwise_kernel_helperILb0EZZZNS0_12_GLOBAL__N_137scaled_modified_bessel_k0_kernel_cudaERNS_18TensorIteratorBaseEENKUlvE_clEvENKUlvE_clEvEUldE_NS0_6memory8policies10vectorizedILi4ESt5arrayIPcLm2EELi4EEEEEvT0_T1_.has_indirect_call, .L_ZN2at6native25elementwise_kernel_helperILb0EZZZNS0_12_GLOBAL__N_137scaled_modified_bessel_k0_kernel_cudaERNS_18TensorIteratorBaseEENKUlvE_clEvENKUlvE_clEvEUldE_NS0_6memory8policies11unroll_baseILi256ESt5arrayIPcLm2EE23TrivialOffsetCalculatorILi1EjESF_NS8_15LoadWithoutCastENS8_16StoreWithoutCastELi4ELi1EEEEEvT0_T1_.has_indirect_call)
	.section	.AMDGPU.csdata,"",@progbits
; Kernel info:
; codeLenInByte = 180
; TotalNumSgprs: 37
; NumVgprs: 37
; ScratchSize: 0
; MemoryBound: 0
; FloatMode: 240
; IeeeMode: 1
; LDSByteSize: 0 bytes/workgroup (compile time only)
; SGPRBlocks: 4
; VGPRBlocks: 9
; NumSGPRsForWavesPerEU: 37
; NumVGPRsForWavesPerEU: 37
; Occupancy: 6
; WaveLimiterHint : 0
; COMPUTE_PGM_RSRC2:SCRATCH_EN: 0
; COMPUTE_PGM_RSRC2:USER_SGPR: 6
; COMPUTE_PGM_RSRC2:TRAP_HANDLER: 0
; COMPUTE_PGM_RSRC2:TGID_X_EN: 1
; COMPUTE_PGM_RSRC2:TGID_Y_EN: 0
; COMPUTE_PGM_RSRC2:TGID_Z_EN: 0
; COMPUTE_PGM_RSRC2:TIDIG_COMP_CNT: 0
	.section	.text._ZN2at6native29vectorized_elementwise_kernelILi4EZZZNS0_12_GLOBAL__N_137scaled_modified_bessel_k0_kernel_cudaERNS_18TensorIteratorBaseEENKUlvE_clEvENKUlvE_clEvEUldE_St5arrayIPcLm2EEEEviT0_T1_,"axG",@progbits,_ZN2at6native29vectorized_elementwise_kernelILi4EZZZNS0_12_GLOBAL__N_137scaled_modified_bessel_k0_kernel_cudaERNS_18TensorIteratorBaseEENKUlvE_clEvENKUlvE_clEvEUldE_St5arrayIPcLm2EEEEviT0_T1_,comdat
	.globl	_ZN2at6native29vectorized_elementwise_kernelILi4EZZZNS0_12_GLOBAL__N_137scaled_modified_bessel_k0_kernel_cudaERNS_18TensorIteratorBaseEENKUlvE_clEvENKUlvE_clEvEUldE_St5arrayIPcLm2EEEEviT0_T1_ ; -- Begin function _ZN2at6native29vectorized_elementwise_kernelILi4EZZZNS0_12_GLOBAL__N_137scaled_modified_bessel_k0_kernel_cudaERNS_18TensorIteratorBaseEENKUlvE_clEvENKUlvE_clEvEUldE_St5arrayIPcLm2EEEEviT0_T1_
	.p2align	8
	.type	_ZN2at6native29vectorized_elementwise_kernelILi4EZZZNS0_12_GLOBAL__N_137scaled_modified_bessel_k0_kernel_cudaERNS_18TensorIteratorBaseEENKUlvE_clEvENKUlvE_clEvEUldE_St5arrayIPcLm2EEEEviT0_T1_,@function
_ZN2at6native29vectorized_elementwise_kernelILi4EZZZNS0_12_GLOBAL__N_137scaled_modified_bessel_k0_kernel_cudaERNS_18TensorIteratorBaseEENKUlvE_clEvENKUlvE_clEvEUldE_St5arrayIPcLm2EEEEviT0_T1_: ; @_ZN2at6native29vectorized_elementwise_kernelILi4EZZZNS0_12_GLOBAL__N_137scaled_modified_bessel_k0_kernel_cudaERNS_18TensorIteratorBaseEENKUlvE_clEvENKUlvE_clEvEUldE_St5arrayIPcLm2EEEEviT0_T1_
; %bb.0:
	s_mov_b32 s20, s6
	s_load_dword s6, s[4:5], 0x0
	s_load_dwordx4 s[24:27], s[4:5], 0x8
	s_add_u32 s0, s0, s7
	s_addc_u32 s1, s1, 0
	s_lshl_b32 s4, s20, 10
	s_waitcnt lgkmcnt(0)
	s_sub_i32 s21, s6, s4
	v_mov_b32_e32 v33, v0
	s_cmpk_gt_i32 s21, 0x3ff
	s_mov_b64 s[4:5], -1
	s_mov_b32 s32, 0
	s_cbranch_scc1 .LBB4_3
; %bb.1:
	s_andn2_b64 vcc, exec, s[4:5]
	s_cbranch_vccz .LBB4_4
.LBB4_2:
	s_endpgm
.LBB4_3:
	s_getpc_b64 s[4:5]
	s_add_u32 s4, s4, _ZN2at6native25elementwise_kernel_helperILb0EZZZNS0_12_GLOBAL__N_137scaled_modified_bessel_k0_kernel_cudaERNS_18TensorIteratorBaseEENKUlvE_clEvENKUlvE_clEvEUldE_NS0_6memory8policies10vectorizedILi4ESt5arrayIPcLm2EELi4EEEEEvT0_T1_@rel32@lo+4
	s_addc_u32 s5, s5, _ZN2at6native25elementwise_kernel_helperILb0EZZZNS0_12_GLOBAL__N_137scaled_modified_bessel_k0_kernel_cudaERNS_18TensorIteratorBaseEENKUlvE_clEvENKUlvE_clEvEUldE_NS0_6memory8policies10vectorizedILi4ESt5arrayIPcLm2EELi4EEEEEvT0_T1_@rel32@hi+12
	s_mov_b32 s12, s20
	v_mov_b32_e32 v31, v33
	v_mov_b32_e32 v0, s24
	;; [unrolled: 1-line block ×5, first 2 shown]
	s_swappc_b64 s[30:31], s[4:5]
	s_cbranch_execnz .LBB4_2
.LBB4_4:
	s_getpc_b64 s[4:5]
	s_add_u32 s4, s4, _ZN2at6native25elementwise_kernel_helperILb0EZZZNS0_12_GLOBAL__N_137scaled_modified_bessel_k0_kernel_cudaERNS_18TensorIteratorBaseEENKUlvE_clEvENKUlvE_clEvEUldE_NS0_6memory8policies11unroll_baseILi256ESt5arrayIPcLm2EE23TrivialOffsetCalculatorILi1EjESF_NS8_15LoadWithoutCastENS8_16StoreWithoutCastELi4ELi1EEEEEvT0_T1_@rel32@lo+4
	s_addc_u32 s5, s5, _ZN2at6native25elementwise_kernel_helperILb0EZZZNS0_12_GLOBAL__N_137scaled_modified_bessel_k0_kernel_cudaERNS_18TensorIteratorBaseEENKUlvE_clEvENKUlvE_clEvEUldE_NS0_6memory8policies11unroll_baseILi256ESt5arrayIPcLm2EE23TrivialOffsetCalculatorILi1EjESF_NS8_15LoadWithoutCastENS8_16StoreWithoutCastELi4ELi1EEEEEvT0_T1_@rel32@hi+12
	s_mov_b32 s12, s20
	v_mov_b32_e32 v31, v33
	v_mov_b32_e32 v0, s24
	;; [unrolled: 1-line block ×6, first 2 shown]
	s_swappc_b64 s[30:31], s[4:5]
	s_endpgm
	.section	.rodata,"a",@progbits
	.p2align	6, 0x0
	.amdhsa_kernel _ZN2at6native29vectorized_elementwise_kernelILi4EZZZNS0_12_GLOBAL__N_137scaled_modified_bessel_k0_kernel_cudaERNS_18TensorIteratorBaseEENKUlvE_clEvENKUlvE_clEvEUldE_St5arrayIPcLm2EEEEviT0_T1_
		.amdhsa_group_segment_fixed_size 0
		.amdhsa_private_segment_fixed_size 0
		.amdhsa_kernarg_size 24
		.amdhsa_user_sgpr_count 6
		.amdhsa_user_sgpr_private_segment_buffer 1
		.amdhsa_user_sgpr_dispatch_ptr 0
		.amdhsa_user_sgpr_queue_ptr 0
		.amdhsa_user_sgpr_kernarg_segment_ptr 1
		.amdhsa_user_sgpr_dispatch_id 0
		.amdhsa_user_sgpr_flat_scratch_init 0
		.amdhsa_user_sgpr_private_segment_size 0
		.amdhsa_uses_dynamic_stack 0
		.amdhsa_system_sgpr_private_segment_wavefront_offset 0
		.amdhsa_system_sgpr_workgroup_id_x 1
		.amdhsa_system_sgpr_workgroup_id_y 0
		.amdhsa_system_sgpr_workgroup_id_z 0
		.amdhsa_system_sgpr_workgroup_info 0
		.amdhsa_system_vgpr_workitem_id 0
		.amdhsa_next_free_vgpr 37
		.amdhsa_next_free_sgpr 33
		.amdhsa_reserve_vcc 1
		.amdhsa_reserve_flat_scratch 0
		.amdhsa_float_round_mode_32 0
		.amdhsa_float_round_mode_16_64 0
		.amdhsa_float_denorm_mode_32 3
		.amdhsa_float_denorm_mode_16_64 3
		.amdhsa_dx10_clamp 1
		.amdhsa_ieee_mode 1
		.amdhsa_fp16_overflow 0
		.amdhsa_exception_fp_ieee_invalid_op 0
		.amdhsa_exception_fp_denorm_src 0
		.amdhsa_exception_fp_ieee_div_zero 0
		.amdhsa_exception_fp_ieee_overflow 0
		.amdhsa_exception_fp_ieee_underflow 0
		.amdhsa_exception_fp_ieee_inexact 0
		.amdhsa_exception_int_div_zero 0
	.end_amdhsa_kernel
	.section	.text._ZN2at6native29vectorized_elementwise_kernelILi4EZZZNS0_12_GLOBAL__N_137scaled_modified_bessel_k0_kernel_cudaERNS_18TensorIteratorBaseEENKUlvE_clEvENKUlvE_clEvEUldE_St5arrayIPcLm2EEEEviT0_T1_,"axG",@progbits,_ZN2at6native29vectorized_elementwise_kernelILi4EZZZNS0_12_GLOBAL__N_137scaled_modified_bessel_k0_kernel_cudaERNS_18TensorIteratorBaseEENKUlvE_clEvENKUlvE_clEvEUldE_St5arrayIPcLm2EEEEviT0_T1_,comdat
.Lfunc_end4:
	.size	_ZN2at6native29vectorized_elementwise_kernelILi4EZZZNS0_12_GLOBAL__N_137scaled_modified_bessel_k0_kernel_cudaERNS_18TensorIteratorBaseEENKUlvE_clEvENKUlvE_clEvEUldE_St5arrayIPcLm2EEEEviT0_T1_, .Lfunc_end4-_ZN2at6native29vectorized_elementwise_kernelILi4EZZZNS0_12_GLOBAL__N_137scaled_modified_bessel_k0_kernel_cudaERNS_18TensorIteratorBaseEENKUlvE_clEvENKUlvE_clEvEUldE_St5arrayIPcLm2EEEEviT0_T1_
                                        ; -- End function
	.set _ZN2at6native29vectorized_elementwise_kernelILi4EZZZNS0_12_GLOBAL__N_137scaled_modified_bessel_k0_kernel_cudaERNS_18TensorIteratorBaseEENKUlvE_clEvENKUlvE_clEvEUldE_St5arrayIPcLm2EEEEviT0_T1_.num_vgpr, max(34, .L_ZN2at6native25elementwise_kernel_helperILb0EZZZNS0_12_GLOBAL__N_137scaled_modified_bessel_k0_kernel_cudaERNS_18TensorIteratorBaseEENKUlvE_clEvENKUlvE_clEvEUldE_NS0_6memory8policies10vectorizedILi4ESt5arrayIPcLm2EELi4EEEEEvT0_T1_.num_vgpr, .L_ZN2at6native25elementwise_kernel_helperILb0EZZZNS0_12_GLOBAL__N_137scaled_modified_bessel_k0_kernel_cudaERNS_18TensorIteratorBaseEENKUlvE_clEvENKUlvE_clEvEUldE_NS0_6memory8policies11unroll_baseILi256ESt5arrayIPcLm2EE23TrivialOffsetCalculatorILi1EjESF_NS8_15LoadWithoutCastENS8_16StoreWithoutCastELi4ELi1EEEEEvT0_T1_.num_vgpr)
	.set _ZN2at6native29vectorized_elementwise_kernelILi4EZZZNS0_12_GLOBAL__N_137scaled_modified_bessel_k0_kernel_cudaERNS_18TensorIteratorBaseEENKUlvE_clEvENKUlvE_clEvEUldE_St5arrayIPcLm2EEEEviT0_T1_.num_agpr, max(0, .L_ZN2at6native25elementwise_kernel_helperILb0EZZZNS0_12_GLOBAL__N_137scaled_modified_bessel_k0_kernel_cudaERNS_18TensorIteratorBaseEENKUlvE_clEvENKUlvE_clEvEUldE_NS0_6memory8policies10vectorizedILi4ESt5arrayIPcLm2EELi4EEEEEvT0_T1_.num_agpr, .L_ZN2at6native25elementwise_kernel_helperILb0EZZZNS0_12_GLOBAL__N_137scaled_modified_bessel_k0_kernel_cudaERNS_18TensorIteratorBaseEENKUlvE_clEvENKUlvE_clEvEUldE_NS0_6memory8policies11unroll_baseILi256ESt5arrayIPcLm2EE23TrivialOffsetCalculatorILi1EjESF_NS8_15LoadWithoutCastENS8_16StoreWithoutCastELi4ELi1EEEEEvT0_T1_.num_agpr)
	.set _ZN2at6native29vectorized_elementwise_kernelILi4EZZZNS0_12_GLOBAL__N_137scaled_modified_bessel_k0_kernel_cudaERNS_18TensorIteratorBaseEENKUlvE_clEvENKUlvE_clEvEUldE_St5arrayIPcLm2EEEEviT0_T1_.numbered_sgpr, max(33, .L_ZN2at6native25elementwise_kernel_helperILb0EZZZNS0_12_GLOBAL__N_137scaled_modified_bessel_k0_kernel_cudaERNS_18TensorIteratorBaseEENKUlvE_clEvENKUlvE_clEvEUldE_NS0_6memory8policies10vectorizedILi4ESt5arrayIPcLm2EELi4EEEEEvT0_T1_.numbered_sgpr, .L_ZN2at6native25elementwise_kernel_helperILb0EZZZNS0_12_GLOBAL__N_137scaled_modified_bessel_k0_kernel_cudaERNS_18TensorIteratorBaseEENKUlvE_clEvENKUlvE_clEvEUldE_NS0_6memory8policies11unroll_baseILi256ESt5arrayIPcLm2EE23TrivialOffsetCalculatorILi1EjESF_NS8_15LoadWithoutCastENS8_16StoreWithoutCastELi4ELi1EEEEEvT0_T1_.numbered_sgpr)
	.set _ZN2at6native29vectorized_elementwise_kernelILi4EZZZNS0_12_GLOBAL__N_137scaled_modified_bessel_k0_kernel_cudaERNS_18TensorIteratorBaseEENKUlvE_clEvENKUlvE_clEvEUldE_St5arrayIPcLm2EEEEviT0_T1_.num_named_barrier, max(0, .L_ZN2at6native25elementwise_kernel_helperILb0EZZZNS0_12_GLOBAL__N_137scaled_modified_bessel_k0_kernel_cudaERNS_18TensorIteratorBaseEENKUlvE_clEvENKUlvE_clEvEUldE_NS0_6memory8policies10vectorizedILi4ESt5arrayIPcLm2EELi4EEEEEvT0_T1_.num_named_barrier, .L_ZN2at6native25elementwise_kernel_helperILb0EZZZNS0_12_GLOBAL__N_137scaled_modified_bessel_k0_kernel_cudaERNS_18TensorIteratorBaseEENKUlvE_clEvENKUlvE_clEvEUldE_NS0_6memory8policies11unroll_baseILi256ESt5arrayIPcLm2EE23TrivialOffsetCalculatorILi1EjESF_NS8_15LoadWithoutCastENS8_16StoreWithoutCastELi4ELi1EEEEEvT0_T1_.num_named_barrier)
	.set _ZN2at6native29vectorized_elementwise_kernelILi4EZZZNS0_12_GLOBAL__N_137scaled_modified_bessel_k0_kernel_cudaERNS_18TensorIteratorBaseEENKUlvE_clEvENKUlvE_clEvEUldE_St5arrayIPcLm2EEEEviT0_T1_.private_seg_size, 0+max(.L_ZN2at6native25elementwise_kernel_helperILb0EZZZNS0_12_GLOBAL__N_137scaled_modified_bessel_k0_kernel_cudaERNS_18TensorIteratorBaseEENKUlvE_clEvENKUlvE_clEvEUldE_NS0_6memory8policies10vectorizedILi4ESt5arrayIPcLm2EELi4EEEEEvT0_T1_.private_seg_size, .L_ZN2at6native25elementwise_kernel_helperILb0EZZZNS0_12_GLOBAL__N_137scaled_modified_bessel_k0_kernel_cudaERNS_18TensorIteratorBaseEENKUlvE_clEvENKUlvE_clEvEUldE_NS0_6memory8policies11unroll_baseILi256ESt5arrayIPcLm2EE23TrivialOffsetCalculatorILi1EjESF_NS8_15LoadWithoutCastENS8_16StoreWithoutCastELi4ELi1EEEEEvT0_T1_.private_seg_size)
	.set _ZN2at6native29vectorized_elementwise_kernelILi4EZZZNS0_12_GLOBAL__N_137scaled_modified_bessel_k0_kernel_cudaERNS_18TensorIteratorBaseEENKUlvE_clEvENKUlvE_clEvEUldE_St5arrayIPcLm2EEEEviT0_T1_.uses_vcc, or(1, .L_ZN2at6native25elementwise_kernel_helperILb0EZZZNS0_12_GLOBAL__N_137scaled_modified_bessel_k0_kernel_cudaERNS_18TensorIteratorBaseEENKUlvE_clEvENKUlvE_clEvEUldE_NS0_6memory8policies10vectorizedILi4ESt5arrayIPcLm2EELi4EEEEEvT0_T1_.uses_vcc, .L_ZN2at6native25elementwise_kernel_helperILb0EZZZNS0_12_GLOBAL__N_137scaled_modified_bessel_k0_kernel_cudaERNS_18TensorIteratorBaseEENKUlvE_clEvENKUlvE_clEvEUldE_NS0_6memory8policies11unroll_baseILi256ESt5arrayIPcLm2EE23TrivialOffsetCalculatorILi1EjESF_NS8_15LoadWithoutCastENS8_16StoreWithoutCastELi4ELi1EEEEEvT0_T1_.uses_vcc)
	.set _ZN2at6native29vectorized_elementwise_kernelILi4EZZZNS0_12_GLOBAL__N_137scaled_modified_bessel_k0_kernel_cudaERNS_18TensorIteratorBaseEENKUlvE_clEvENKUlvE_clEvEUldE_St5arrayIPcLm2EEEEviT0_T1_.uses_flat_scratch, or(0, .L_ZN2at6native25elementwise_kernel_helperILb0EZZZNS0_12_GLOBAL__N_137scaled_modified_bessel_k0_kernel_cudaERNS_18TensorIteratorBaseEENKUlvE_clEvENKUlvE_clEvEUldE_NS0_6memory8policies10vectorizedILi4ESt5arrayIPcLm2EELi4EEEEEvT0_T1_.uses_flat_scratch, .L_ZN2at6native25elementwise_kernel_helperILb0EZZZNS0_12_GLOBAL__N_137scaled_modified_bessel_k0_kernel_cudaERNS_18TensorIteratorBaseEENKUlvE_clEvENKUlvE_clEvEUldE_NS0_6memory8policies11unroll_baseILi256ESt5arrayIPcLm2EE23TrivialOffsetCalculatorILi1EjESF_NS8_15LoadWithoutCastENS8_16StoreWithoutCastELi4ELi1EEEEEvT0_T1_.uses_flat_scratch)
	.set _ZN2at6native29vectorized_elementwise_kernelILi4EZZZNS0_12_GLOBAL__N_137scaled_modified_bessel_k0_kernel_cudaERNS_18TensorIteratorBaseEENKUlvE_clEvENKUlvE_clEvEUldE_St5arrayIPcLm2EEEEviT0_T1_.has_dyn_sized_stack, or(0, .L_ZN2at6native25elementwise_kernel_helperILb0EZZZNS0_12_GLOBAL__N_137scaled_modified_bessel_k0_kernel_cudaERNS_18TensorIteratorBaseEENKUlvE_clEvENKUlvE_clEvEUldE_NS0_6memory8policies10vectorizedILi4ESt5arrayIPcLm2EELi4EEEEEvT0_T1_.has_dyn_sized_stack, .L_ZN2at6native25elementwise_kernel_helperILb0EZZZNS0_12_GLOBAL__N_137scaled_modified_bessel_k0_kernel_cudaERNS_18TensorIteratorBaseEENKUlvE_clEvENKUlvE_clEvEUldE_NS0_6memory8policies11unroll_baseILi256ESt5arrayIPcLm2EE23TrivialOffsetCalculatorILi1EjESF_NS8_15LoadWithoutCastENS8_16StoreWithoutCastELi4ELi1EEEEEvT0_T1_.has_dyn_sized_stack)
	.set _ZN2at6native29vectorized_elementwise_kernelILi4EZZZNS0_12_GLOBAL__N_137scaled_modified_bessel_k0_kernel_cudaERNS_18TensorIteratorBaseEENKUlvE_clEvENKUlvE_clEvEUldE_St5arrayIPcLm2EEEEviT0_T1_.has_recursion, or(0, .L_ZN2at6native25elementwise_kernel_helperILb0EZZZNS0_12_GLOBAL__N_137scaled_modified_bessel_k0_kernel_cudaERNS_18TensorIteratorBaseEENKUlvE_clEvENKUlvE_clEvEUldE_NS0_6memory8policies10vectorizedILi4ESt5arrayIPcLm2EELi4EEEEEvT0_T1_.has_recursion, .L_ZN2at6native25elementwise_kernel_helperILb0EZZZNS0_12_GLOBAL__N_137scaled_modified_bessel_k0_kernel_cudaERNS_18TensorIteratorBaseEENKUlvE_clEvENKUlvE_clEvEUldE_NS0_6memory8policies11unroll_baseILi256ESt5arrayIPcLm2EE23TrivialOffsetCalculatorILi1EjESF_NS8_15LoadWithoutCastENS8_16StoreWithoutCastELi4ELi1EEEEEvT0_T1_.has_recursion)
	.set _ZN2at6native29vectorized_elementwise_kernelILi4EZZZNS0_12_GLOBAL__N_137scaled_modified_bessel_k0_kernel_cudaERNS_18TensorIteratorBaseEENKUlvE_clEvENKUlvE_clEvEUldE_St5arrayIPcLm2EEEEviT0_T1_.has_indirect_call, or(0, .L_ZN2at6native25elementwise_kernel_helperILb0EZZZNS0_12_GLOBAL__N_137scaled_modified_bessel_k0_kernel_cudaERNS_18TensorIteratorBaseEENKUlvE_clEvENKUlvE_clEvEUldE_NS0_6memory8policies10vectorizedILi4ESt5arrayIPcLm2EELi4EEEEEvT0_T1_.has_indirect_call, .L_ZN2at6native25elementwise_kernel_helperILb0EZZZNS0_12_GLOBAL__N_137scaled_modified_bessel_k0_kernel_cudaERNS_18TensorIteratorBaseEENKUlvE_clEvENKUlvE_clEvEUldE_NS0_6memory8policies11unroll_baseILi256ESt5arrayIPcLm2EE23TrivialOffsetCalculatorILi1EjESF_NS8_15LoadWithoutCastENS8_16StoreWithoutCastELi4ELi1EEEEEvT0_T1_.has_indirect_call)
	.section	.AMDGPU.csdata,"",@progbits
; Kernel info:
; codeLenInByte = 180
; TotalNumSgprs: 37
; NumVgprs: 37
; ScratchSize: 0
; MemoryBound: 0
; FloatMode: 240
; IeeeMode: 1
; LDSByteSize: 0 bytes/workgroup (compile time only)
; SGPRBlocks: 4
; VGPRBlocks: 9
; NumSGPRsForWavesPerEU: 37
; NumVGPRsForWavesPerEU: 37
; Occupancy: 6
; WaveLimiterHint : 0
; COMPUTE_PGM_RSRC2:SCRATCH_EN: 0
; COMPUTE_PGM_RSRC2:USER_SGPR: 6
; COMPUTE_PGM_RSRC2:TRAP_HANDLER: 0
; COMPUTE_PGM_RSRC2:TGID_X_EN: 1
; COMPUTE_PGM_RSRC2:TGID_Y_EN: 0
; COMPUTE_PGM_RSRC2:TGID_Z_EN: 0
; COMPUTE_PGM_RSRC2:TIDIG_COMP_CNT: 0
	.section	.text._ZN2at6native29vectorized_elementwise_kernelILi2EZZZNS0_12_GLOBAL__N_137scaled_modified_bessel_k0_kernel_cudaERNS_18TensorIteratorBaseEENKUlvE_clEvENKUlvE_clEvEUldE_St5arrayIPcLm2EEEEviT0_T1_,"axG",@progbits,_ZN2at6native29vectorized_elementwise_kernelILi2EZZZNS0_12_GLOBAL__N_137scaled_modified_bessel_k0_kernel_cudaERNS_18TensorIteratorBaseEENKUlvE_clEvENKUlvE_clEvEUldE_St5arrayIPcLm2EEEEviT0_T1_,comdat
	.globl	_ZN2at6native29vectorized_elementwise_kernelILi2EZZZNS0_12_GLOBAL__N_137scaled_modified_bessel_k0_kernel_cudaERNS_18TensorIteratorBaseEENKUlvE_clEvENKUlvE_clEvEUldE_St5arrayIPcLm2EEEEviT0_T1_ ; -- Begin function _ZN2at6native29vectorized_elementwise_kernelILi2EZZZNS0_12_GLOBAL__N_137scaled_modified_bessel_k0_kernel_cudaERNS_18TensorIteratorBaseEENKUlvE_clEvENKUlvE_clEvEUldE_St5arrayIPcLm2EEEEviT0_T1_
	.p2align	8
	.type	_ZN2at6native29vectorized_elementwise_kernelILi2EZZZNS0_12_GLOBAL__N_137scaled_modified_bessel_k0_kernel_cudaERNS_18TensorIteratorBaseEENKUlvE_clEvENKUlvE_clEvEUldE_St5arrayIPcLm2EEEEviT0_T1_,@function
_ZN2at6native29vectorized_elementwise_kernelILi2EZZZNS0_12_GLOBAL__N_137scaled_modified_bessel_k0_kernel_cudaERNS_18TensorIteratorBaseEENKUlvE_clEvENKUlvE_clEvEUldE_St5arrayIPcLm2EEEEviT0_T1_: ; @_ZN2at6native29vectorized_elementwise_kernelILi2EZZZNS0_12_GLOBAL__N_137scaled_modified_bessel_k0_kernel_cudaERNS_18TensorIteratorBaseEENKUlvE_clEvENKUlvE_clEvEUldE_St5arrayIPcLm2EEEEviT0_T1_
; %bb.0:
	s_add_u32 s0, s0, s7
	s_load_dword s7, s[4:5], 0x0
	s_load_dwordx4 s[8:11], s[4:5], 0x8
	s_addc_u32 s1, s1, 0
	s_lshl_b32 s4, s6, 10
	s_mov_b64 s[14:15], -1
	s_waitcnt lgkmcnt(0)
	s_sub_i32 s7, s7, s4
	s_cmpk_gt_i32 s7, 0x3ff
	s_mov_b32 s32, 0
	s_cbranch_scc1 .LBB5_3
; %bb.1:
	s_and_b64 vcc, exec, s[14:15]
	s_cbranch_vccnz .LBB5_36
.LBB5_2:
	s_endpgm
.LBB5_3:
	s_ashr_i32 s5, s4, 31
	s_lshl_b64 s[12:13], s[4:5], 3
	s_add_u32 s4, s10, s12
	s_addc_u32 s5, s11, s13
	v_lshlrev_b32_e32 v15, 4, v0
	global_load_dwordx4 v[9:12], v15, s[4:5]
	v_mov_b32_e32 v1, s5
	v_add_co_u32_e32 v2, vcc, s4, v15
	v_addc_co_u32_e32 v3, vcc, 0, v1, vcc
	v_add_co_u32_e32 v1, vcc, 0x1000, v2
	v_addc_co_u32_e32 v2, vcc, 0, v3, vcc
	global_load_dwordx4 v[5:8], v[1:2], off
	v_mov_b32_e32 v3, 0
	v_mov_b32_e32 v1, 0
	;; [unrolled: 1-line block ×4, first 2 shown]
	s_waitcnt vmcnt(1)
	v_cmp_neq_f64_e32 vcc, 0, v[9:10]
	s_and_saveexec_b64 s[14:15], vcc
	s_cbranch_execz .LBB5_11
; %bb.4:
	v_cmp_ngt_f64_e32 vcc, 0, v[9:10]
	v_mov_b32_e32 v1, 0
	v_mov_b32_e32 v2, 0x7ff80000
	s_and_saveexec_b64 s[16:17], vcc
	s_cbranch_execz .LBB5_10
; %bb.5:
	v_cmp_ge_f64_e32 vcc, 2.0, v[9:10]
	s_and_saveexec_b64 s[4:5], vcc
	s_xor_b64 s[18:19], exec, s[4:5]
	s_cbranch_execz .LBB5_7
; %bb.6:
	v_fma_f64 v[1:2], v[9:10], 0.5, -2.0
	v_mov_b32_e32 v13, 0x977da589
	v_mov_b32_e32 v14, 0x3c833362
	s_mov_b32 s5, 0xbc545cb7
	s_mov_b32 s4, 0x2134d0ef
	v_mul_f64 v[18:19], v[9:10], 0.5
	s_mov_b32 s21, 0x3fe55555
	s_mov_b32 s20, 0x55555555
	v_fma_f64 v[13:14], v[1:2], s[4:5], v[13:14]
	s_mov_b32 s5, 0x3c545cb7
	s_mov_b32 s22, 0x59c41d5a
	s_mov_b32 s23, 0xbf0e2b26
	s_mov_b32 s24, 0x16291751
	v_frexp_mant_f64_e32 v[20:21], v[18:19]
	s_mov_b32 s25, 0x3fcc71c0
	s_mov_b32 s26, 0x9b27acf1
	v_fma_f64 v[16:17], v[1:2], v[13:14], s[4:5]
	s_mov_b32 s4, 0x721ebbb4
	s_mov_b32 s5, 0xbcb184eb
	;; [unrolled: 1-line block ×4, first 2 shown]
	v_cmp_gt_f64_e32 vcc, s[20:21], v[20:21]
	s_mov_b32 s43, 0x3fd99999
	s_mov_b32 s20, 0x55555780
	v_add_f64 v[16:17], v[16:17], s[4:5]
	s_mov_b32 s4, 0x93f65eba
	s_mov_b32 s5, 0x3cdee6d8
	;; [unrolled: 1-line block ×4, first 2 shown]
	v_cndmask_b32_e64 v22, 0, 1, vcc
	v_ldexp_f64 v[20:21], v[20:21], v22
	v_frexp_exp_i32_f64_e32 v38, v[18:19]
	v_fma_f64 v[13:14], v[1:2], v[16:17], -v[13:14]
	s_mov_b32 s44, 0x652b82fe
	s_mov_b32 s45, 0x3ff71547
	s_mov_b32 s29, 0x3fe62e42
	s_mov_b32 s28, 0xfefa39ef
	s_mov_b32 s38, 0x47512144
	v_add_f64 v[22:23], v[20:21], 1.0
	v_add_f64 v[28:29], v[20:21], -1.0
	v_add_f64 v[13:14], v[13:14], s[4:5]
	s_mov_b32 s4, 0xc297fbeb
	s_mov_b32 s5, 0xbd0a5022
	v_subbrev_co_u32_e32 v38, vcc, 0, v38, vcc
	v_cvt_f64_i32_e32 v[38:39], v38
	v_rcp_f64_e32 v[24:25], v[22:23]
	v_add_f64 v[30:31], v[22:23], -1.0
	v_fma_f64 v[16:17], v[1:2], v[13:14], -v[16:17]
	v_mul_f64 v[40:41], v[38:39], s[28:29]
	s_mov_b32 s39, 0x3da6c25c
	s_mov_b32 s31, 0x3c7abc9e
	;; [unrolled: 1-line block ×5, first 2 shown]
	v_add_f64 v[20:21], v[20:21], -v[30:31]
	v_add_f64 v[16:17], v[16:17], s[4:5]
	s_mov_b32 s4, 0x4b262627
	s_mov_b32 s5, 0x3d359b46
	;; [unrolled: 1-line block ×4, first 2 shown]
	v_fma_f64 v[26:27], -v[22:23], v[24:25], 1.0
	v_fma_f64 v[13:14], v[1:2], v[16:17], -v[13:14]
	v_fma_f64 v[24:25], v[26:27], v[24:25], v[24:25]
	v_add_f64 v[13:14], v[13:14], s[4:5]
	s_mov_b32 s4, 0x62ee1af0
	s_mov_b32 s5, 0xbd61164c
	v_fma_f64 v[26:27], -v[22:23], v[24:25], 1.0
	v_fma_f64 v[16:17], v[1:2], v[13:14], -v[16:17]
	v_fma_f64 v[24:25], v[26:27], v[24:25], v[24:25]
	v_add_f64 v[16:17], v[16:17], s[4:5]
	s_mov_b32 s4, 0xe19bd324
	s_mov_b32 s5, 0x3d89fe2f
	v_mul_f64 v[26:27], v[28:29], v[24:25]
	v_fma_f64 v[13:14], v[1:2], v[16:17], -v[13:14]
	v_mul_f64 v[32:33], v[22:23], v[26:27]
	v_add_f64 v[13:14], v[13:14], s[4:5]
	s_mov_b32 s4, 0x7a946abc
	s_mov_b32 s5, 0xbdb2fc95
	v_fma_f64 v[22:23], v[26:27], v[22:23], -v[32:33]
	v_fma_f64 v[16:17], v[1:2], v[13:14], -v[16:17]
	v_fma_f64 v[20:21], v[26:27], v[20:21], v[22:23]
	v_add_f64 v[16:17], v[16:17], s[4:5]
	s_mov_b32 s4, 0xcc743c10
	s_mov_b32 s5, 0x3dda98be
	v_add_f64 v[22:23], v[32:33], v[20:21]
	v_fma_f64 v[13:14], v[1:2], v[16:17], -v[13:14]
	v_add_f64 v[30:31], v[28:29], -v[22:23]
	v_add_f64 v[32:33], v[22:23], -v[32:33]
	v_add_f64 v[13:14], v[13:14], s[4:5]
	s_mov_b32 s4, 0x13ae9556
	s_mov_b32 s5, 0xbe01d4fe
	v_add_f64 v[28:29], v[28:29], -v[30:31]
	v_add_f64 v[20:21], v[32:33], -v[20:21]
	v_fma_f64 v[16:17], v[1:2], v[13:14], -v[16:17]
	v_mov_b32_e32 v32, 0xc384c2aa
	v_mov_b32_e32 v33, 0x3d27fb0a
	v_add_f64 v[22:23], v[28:29], -v[22:23]
	v_add_f64 v[16:17], v[16:17], s[4:5]
	s_mov_b32 s4, 0xa454cb34
	s_mov_b32 s5, 0x3e26d903
	v_add_f64 v[20:21], v[20:21], v[22:23]
	v_mov_b32_e32 v22, 0x6b47b09a
	v_fma_f64 v[13:14], v[1:2], v[16:17], -v[13:14]
	v_mov_b32_e32 v23, 0x3fc38538
	v_add_f64 v[20:21], v[30:31], v[20:21]
	v_fma_f64 v[30:31], v[9:10], v[9:10], -2.0
	v_add_f64 v[13:14], v[13:14], s[4:5]
	s_mov_b32 s4, 0x8c0b30ab
	s_mov_b32 s5, 0xbe4beaf6
	v_mul_f64 v[20:21], v[24:25], v[20:21]
	v_fma_f64 v[16:17], v[1:2], v[13:14], -v[16:17]
	v_add_f64 v[24:25], v[26:27], v[20:21]
	v_add_f64 v[16:17], v[16:17], s[4:5]
	s_mov_b32 s4, 0x9d4d6435
	s_mov_b32 s5, 0x3e703b76
	v_mul_f64 v[28:29], v[24:25], v[24:25]
	v_fma_f64 v[13:14], v[1:2], v[16:17], -v[13:14]
	v_mul_f64 v[34:35], v[24:25], v[28:29]
	v_add_f64 v[13:14], v[13:14], s[4:5]
	s_mov_b32 s4, 0x8f227f8d
	s_mov_b32 s5, 0xbe91ec63
	v_fma_f64 v[16:17], v[1:2], v[13:14], -v[16:17]
	v_add_f64 v[16:17], v[16:17], s[4:5]
	s_mov_b32 s4, 0x978cf4ac
	s_mov_b32 s5, 0x3eb2bf24
	v_fma_f64 v[13:14], v[1:2], v[16:17], -v[13:14]
	;; [unrolled: 4-line block ×4, first 2 shown]
	v_add_f64 v[13:14], v[13:14], s[4:5]
	s_mov_b32 s4, 0xbf559e2b
	s_mov_b32 s5, 0x3fc3ab76
	v_fma_f64 v[22:23], v[28:29], s[4:5], v[22:23]
	s_mov_b32 s4, 0x74107cab
	s_mov_b32 s5, 0x3f28b51b
	v_fma_f64 v[16:17], v[1:2], v[13:14], -v[16:17]
	v_add_f64 v[16:17], v[16:17], s[22:23]
	s_mov_b32 s22, 0xd7f4df2e
	s_mov_b32 s23, 0x3fc7474d
	v_fma_f64 v[22:23], v[28:29], v[22:23], s[22:23]
	s_mov_b32 s22, 0x554a9085
	s_mov_b32 s23, 0x3fa26bf6
	v_fma_f64 v[13:14], v[1:2], v[16:17], -v[13:14]
	v_fma_f64 v[22:23], v[28:29], v[22:23], s[24:25]
	s_mov_b32 s24, 0x75633d73
	s_mov_b32 s25, 0x3f54b82e
	v_add_f64 v[13:14], v[13:14], s[4:5]
	s_mov_b32 s4, 0x1f15eb52
	s_mov_b32 s5, 0xbf42e2fd
	v_fma_f64 v[22:23], v[28:29], v[22:23], s[26:27]
	s_mov_b32 s26, 0xfe8cfca0
	s_mov_b32 s27, 0x3ef7f900
	v_fma_f64 v[16:17], v[1:2], v[13:14], -v[16:17]
	v_fma_f64 v[22:23], v[28:29], v[22:23], s[42:43]
	s_mov_b32 s42, 0x8a12100e
	s_mov_b32 s43, 0x3f5adc75
	v_add_f64 v[16:17], v[16:17], s[4:5]
	s_mov_b32 s4, 0x81213db9
	s_mov_b32 s5, 0x3fd608d8
	v_fma_f64 v[22:23], v[28:29], v[22:23], s[20:21]
	v_fma_f64 v[28:29], v[30:31], s[40:41], v[32:33]
	v_ldexp_f64 v[32:33], v[24:25], 1
	v_add_f64 v[24:25], v[24:25], -v[26:27]
	s_mov_b32 s41, 0xbca3cee1
	v_fma_f64 v[13:14], v[1:2], v[16:17], -v[13:14]
	s_mov_b32 s20, 0xf3dde3dd
	s_mov_b32 s21, 0x3f859961
	v_mul_f64 v[22:23], v[34:35], v[22:23]
	v_mul_f64 v[34:35], v[9:10], s[44:45]
	v_fma_f64 v[36:37], v[30:31], v[28:29], s[40:41]
	v_add_f64 v[20:21], v[20:21], -v[24:25]
	s_mov_b32 s40, 0xf121b6f0
	v_add_f64 v[13:14], v[13:14], s[42:43]
	s_mov_b32 s42, 0x201aa849
	s_mov_b32 s43, 0xbf71b65e
	v_add_f64 v[26:27], v[32:33], v[22:23]
	s_mov_b32 s41, 0xbf984e9e
	v_add_f64 v[36:37], v[36:37], s[38:39]
	v_ldexp_f64 v[20:21], v[20:21], 1
	v_fma_f64 v[16:17], v[1:2], v[13:14], -v[16:17]
	v_add_f64 v[24:25], v[26:27], -v[32:33]
	v_rndne_f64_e32 v[32:33], v[34:35]
	v_fma_f64 v[34:35], v[38:39], s[28:29], -v[40:41]
	s_mov_b32 s29, 0xbfe62e42
	v_fma_f64 v[28:29], v[30:31], v[36:37], -v[28:29]
	v_add_f64 v[16:17], v[16:17], s[42:43]
	v_add_f64 v[22:23], v[22:23], -v[24:25]
	v_fma_f64 v[9:10], v[32:33], s[28:29], v[9:10]
	v_fma_f64 v[34:35], v[38:39], s[30:31], v[34:35]
	s_mov_b32 s31, 0xbc7abc9e
	v_add_f64 v[28:29], v[28:29], s[36:37]
	v_fma_f64 v[13:14], v[1:2], v[16:17], -v[13:14]
	s_mov_b32 s28, 0x6a5dcb37
	v_mov_b32_e32 v24, 0xfca7ab0c
	v_add_f64 v[20:21], v[20:21], v[22:23]
	v_fma_f64 v[9:10], v[32:33], s[30:31], v[9:10]
	v_mov_b32_e32 v25, 0x3e928af3
	s_mov_b32 s29, 0x3e5ade15
	v_add_f64 v[22:23], v[40:41], v[34:35]
	v_add_f64 v[13:14], v[13:14], s[20:21]
	v_fma_f64 v[36:37], v[30:31], v[28:29], -v[36:37]
	s_mov_b32 s20, 0xcea8a32d
	v_add_f64 v[38:39], v[26:27], v[20:21]
	v_fma_f64 v[24:25], v[9:10], s[28:29], v[24:25]
	s_mov_b32 s30, 0x623fde64
	s_mov_b32 s21, 0x3fa93e8a
	;; [unrolled: 1-line block ×3, first 2 shown]
	v_fma_f64 v[16:17], v[1:2], v[13:14], -v[16:17]
	v_add_f64 v[36:37], v[36:37], s[34:35]
	s_mov_b32 s28, 0x342d06ea
	v_add_f64 v[42:43], v[22:23], v[38:39]
	v_fma_f64 v[24:25], v[9:10], v[24:25], s[30:31]
	s_mov_b32 s30, 0x7c89e6b0
	s_mov_b32 s31, 0x3efa0199
	;; [unrolled: 1-line block ×3, first 2 shown]
	v_add_f64 v[16:17], v[16:17], s[40:41]
	v_fma_f64 v[28:29], v[30:31], v[36:37], -v[28:29]
	s_mov_b32 s29, 0xbfb84b70
	v_add_f64 v[44:45], v[42:43], -v[22:23]
	v_fma_f64 v[24:25], v[9:10], v[24:25], s[30:31]
	s_mov_b32 s35, 0x3f2a01a0
	v_add_f64 v[40:41], v[22:23], -v[40:41]
	v_add_f64 v[26:27], v[38:39], -v[26:27]
	v_fma_f64 v[13:14], v[1:2], v[16:17], -v[13:14]
	v_add_f64 v[28:29], v[28:29], s[26:27]
	s_mov_b32 s30, 0x1852b7b0
	v_add_f64 v[46:47], v[42:43], -v[44:45]
	v_fma_f64 v[24:25], v[9:10], v[24:25], s[34:35]
	s_mov_b32 s31, 0x3f56c16c
	v_add_f64 v[34:35], v[34:35], -v[40:41]
	v_add_f64 v[20:21], v[20:21], -v[26:27]
	v_add_f64 v[13:14], v[13:14], s[20:21]
	v_add_f64 v[26:27], v[38:39], -v[44:45]
	v_fma_f64 v[36:37], v[30:31], v[28:29], -v[36:37]
	v_add_f64 v[22:23], v[22:23], -v[46:47]
	v_fma_f64 v[24:25], v[9:10], v[24:25], s[30:31]
	s_mov_b32 s20, 0x77ac88c0
	s_mov_b32 s26, 0x11122322
	;; [unrolled: 1-line block ×3, first 2 shown]
	v_fma_f64 v[16:17], v[1:2], v[13:14], -v[16:17]
	s_mov_b32 s27, 0x3f811111
	v_add_f64 v[38:39], v[34:35], v[20:21]
	v_add_f64 v[22:23], v[26:27], v[22:23]
	v_fma_f64 v[24:25], v[9:10], v[24:25], s[26:27]
	v_add_f64 v[26:27], v[36:37], s[24:25]
	s_mov_b32 s24, 0x555502a1
	s_mov_b32 s25, 0x3fa55555
	v_add_f64 v[16:17], v[16:17], s[28:29]
	v_add_f64 v[36:37], v[38:39], -v[34:35]
	v_add_f64 v[22:23], v[38:39], v[22:23]
	v_fma_f64 v[24:25], v[9:10], v[24:25], s[24:25]
	v_fma_f64 v[28:29], v[30:31], v[26:27], -v[28:29]
	s_mov_b32 s24, 0x55555511
	s_mov_b32 s25, 0x3fc55555
	v_fma_f64 v[13:14], v[1:2], v[16:17], -v[13:14]
	v_add_f64 v[38:39], v[38:39], -v[36:37]
	v_add_f64 v[40:41], v[42:43], v[22:23]
	v_fma_f64 v[24:25], v[9:10], v[24:25], s[24:25]
	v_add_f64 v[28:29], v[28:29], s[22:23]
	v_add_f64 v[20:21], v[20:21], -v[36:37]
	v_add_f64 v[13:14], v[13:14], s[20:21]
	s_mov_b32 s20, 0xc057cd8d
	s_mov_b32 s21, 0xbfd37feb
	v_add_f64 v[34:35], v[34:35], -v[38:39]
	v_add_f64 v[36:37], v[40:41], -v[42:43]
	v_fma_f64 v[26:27], v[30:31], v[28:29], -v[26:27]
	v_fma_f64 v[16:17], v[1:2], v[13:14], -v[16:17]
	v_add_f64 v[16:17], v[16:17], s[20:21]
	s_mov_b32 s20, 11
	s_mov_b32 s21, 0x3fe00000
	v_fma_f64 v[24:25], v[9:10], v[24:25], s[20:21]
	s_mov_b32 s20, 0x9035a22a
	s_mov_b32 s21, 0x3fe5a84e
	v_fma_f64 v[1:2], v[1:2], v[16:17], -v[13:14]
	v_add_f64 v[16:17], v[20:21], v[34:35]
	v_add_f64 v[20:21], v[22:23], -v[36:37]
	v_fma_f64 v[24:25], v[9:10], v[24:25], 1.0
	v_add_f64 v[22:23], v[26:27], s[4:5]
	s_mov_b32 s4, 0xe9d2f61f
	s_mov_b32 s5, 0xbfe12166
	v_add_f64 v[1:2], v[1:2], s[20:21]
	v_add_f64 v[16:17], v[16:17], v[20:21]
	v_fma_f64 v[9:10], v[9:10], v[24:25], 1.0
	v_fma_f64 v[20:21], v[30:31], v[22:23], -v[28:29]
	v_cvt_i32_f64_e32 v22, v[32:33]
	v_add_f64 v[1:2], v[1:2], -v[13:14]
	v_add_f64 v[13:14], v[40:41], v[16:17]
	v_ldexp_f64 v[9:10], v[9:10], v22
	v_add_f64 v[16:17], v[20:21], s[4:5]
	s_mov_b32 s4, 0
	s_mov_b32 s5, 0x7ff00000
	v_cmp_neq_f64_e32 vcc, s[4:5], v[18:19]
	v_mul_f64 v[1:2], v[1:2], 0.5
	v_cmp_neq_f64_e64 s[4:5], 0, v[18:19]
	v_mov_b32_e32 v20, 0x7ff00000
	v_add_f64 v[16:17], v[16:17], -v[28:29]
	v_cndmask_b32_e32 v14, v20, v14, vcc
	v_mul_f64 v[1:2], v[9:10], v[1:2]
	v_mov_b32_e32 v20, 0xfff00000
	s_and_b64 vcc, s[4:5], vcc
	v_cndmask_b32_e64 v14, v20, v14, s[4:5]
	v_cndmask_b32_e32 v13, 0, v13, vcc
	v_mul_f64 v[1:2], v[13:14], v[1:2]
	v_fma_f64 v[1:2], v[16:17], 0.5, -v[1:2]
	v_mul_f64 v[1:2], v[9:10], v[1:2]
.LBB5_7:
	s_andn2_saveexec_b64 s[4:5], s[18:19]
	s_cbranch_execz .LBB5_9
; %bb.8:
	s_mov_b32 s18, 0
	s_mov_b32 s19, 0x40200000
	v_div_scale_f64 v[1:2], s[20:21], v[9:10], v[9:10], s[18:19]
	v_rcp_f64_e32 v[13:14], v[1:2]
	v_fma_f64 v[16:17], -v[1:2], v[13:14], 1.0
	v_fma_f64 v[13:14], v[13:14], v[16:17], v[13:14]
	v_div_scale_f64 v[16:17], vcc, s[18:19], v[9:10], s[18:19]
	v_fma_f64 v[18:19], -v[1:2], v[13:14], 1.0
	v_fma_f64 v[13:14], v[13:14], v[18:19], v[13:14]
	v_mul_f64 v[18:19], v[16:17], v[13:14]
	v_fma_f64 v[1:2], -v[1:2], v[18:19], v[16:17]
	v_div_fmas_f64 v[1:2], v[1:2], v[13:14], v[18:19]
	v_mov_b32_e32 v13, 0x93812603
	v_mov_b32_e32 v14, 0xbc72fecc
	;; [unrolled: 1-line block ×3, first 2 shown]
	v_div_fixup_f64 v[1:2], v[1:2], v[9:10], s[18:19]
	s_mov_b32 s19, 0x3c5871a5
	s_mov_b32 s18, 0xcf8c9ee1
	v_add_f64 v[1:2], v[1:2], -2.0
	v_fma_f64 v[13:14], v[1:2], s[18:19], v[13:14]
	s_mov_b32 s19, 0xbc5871a5
	v_fma_f64 v[16:17], v[1:2], v[13:14], s[18:19]
	s_mov_b32 s18, 0x41a8cdf4
	s_mov_b32 s19, 0x3c8e092e
	v_add_f64 v[16:17], v[16:17], s[18:19]
	s_mov_b32 s18, 0x74d77641
	s_mov_b32 s19, 0xbca82f94
	v_fma_f64 v[13:14], v[1:2], v[16:17], -v[13:14]
	v_add_f64 v[13:14], v[13:14], s[18:19]
	s_mov_b32 s18, 0x6b94785b
	s_mov_b32 s19, 0x3cc3dbf9
	v_fma_f64 v[16:17], v[1:2], v[13:14], -v[16:17]
	;; [unrolled: 4-line block ×17, first 2 shown]
	v_add_f64 v[13:14], v[13:14], s[18:19]
	s_mov_b32 s18, 0
	s_brev_b32 s19, 8
	v_cmp_gt_f64_e32 vcc, s[18:19], v[9:10]
	s_mov_b32 s18, 0xcc7470a9
	s_mov_b32 s19, 0x3eed413f
	v_fma_f64 v[16:17], v[1:2], v[13:14], -v[16:17]
	v_cndmask_b32_e32 v18, 0, v18, vcc
	v_ldexp_f64 v[9:10], v[9:10], v18
	v_add_f64 v[16:17], v[16:17], s[18:19]
	s_mov_b32 s18, 0xe7889f42
	s_mov_b32 s19, 0xbf20d797
	v_rsq_f64_e32 v[18:19], v[9:10]
	v_fma_f64 v[13:14], v[1:2], v[16:17], -v[13:14]
	v_add_f64 v[13:14], v[13:14], s[18:19]
	s_mov_b32 s18, 0xfca79342
	s_mov_b32 s19, 0x3f59b891
	v_mul_f64 v[20:21], v[9:10], v[18:19]
	v_mul_f64 v[18:19], v[18:19], 0.5
	v_fma_f64 v[16:17], v[1:2], v[13:14], -v[16:17]
	v_fma_f64 v[22:23], -v[18:19], v[20:21], 0.5
	v_add_f64 v[16:17], v[16:17], s[18:19]
	s_mov_b32 s18, 0x2d4ff71e
	s_mov_b32 s19, 0xbfa019f7
	v_fma_f64 v[20:21], v[20:21], v[22:23], v[20:21]
	v_fma_f64 v[18:19], v[18:19], v[22:23], v[18:19]
	v_fma_f64 v[13:14], v[1:2], v[16:17], -v[13:14]
	v_fma_f64 v[22:23], -v[20:21], v[20:21], v[9:10]
	v_add_f64 v[13:14], v[13:14], s[18:19]
	s_mov_b32 s18, 0x9f4e6907
	s_mov_b32 s19, 0x400385bd
	v_fma_f64 v[20:21], v[22:23], v[18:19], v[20:21]
	v_fma_f64 v[1:2], v[1:2], v[13:14], -v[16:17]
	v_fma_f64 v[13:14], -v[20:21], v[20:21], v[9:10]
	v_add_f64 v[1:2], v[1:2], s[18:19]
	v_fma_f64 v[13:14], v[13:14], v[18:19], v[20:21]
	v_add_f64 v[1:2], v[1:2], -v[16:17]
	v_mov_b32_e32 v16, 0xffffff80
	v_mov_b32_e32 v17, 0x260
	v_cndmask_b32_e32 v16, 0, v16, vcc
	v_cmp_class_f64_e32 vcc, v[9:10], v17
	v_ldexp_f64 v[13:14], v[13:14], v16
	v_mul_f64 v[1:2], v[1:2], 0.5
	v_cndmask_b32_e32 v10, v14, v10, vcc
	v_cndmask_b32_e32 v9, v13, v9, vcc
	v_div_scale_f64 v[13:14], s[18:19], v[9:10], v[9:10], v[1:2]
	v_div_scale_f64 v[20:21], vcc, v[1:2], v[9:10], v[1:2]
	v_rcp_f64_e32 v[16:17], v[13:14]
	v_fma_f64 v[18:19], -v[13:14], v[16:17], 1.0
	v_fma_f64 v[16:17], v[16:17], v[18:19], v[16:17]
	v_fma_f64 v[18:19], -v[13:14], v[16:17], 1.0
	v_fma_f64 v[16:17], v[16:17], v[18:19], v[16:17]
	v_mul_f64 v[18:19], v[20:21], v[16:17]
	v_fma_f64 v[13:14], -v[13:14], v[18:19], v[20:21]
	v_div_fmas_f64 v[13:14], v[13:14], v[16:17], v[18:19]
	v_div_fixup_f64 v[1:2], v[13:14], v[9:10], v[1:2]
.LBB5_9:
	s_or_b64 exec, exec, s[4:5]
.LBB5_10:
	s_or_b64 exec, exec, s[16:17]
.LBB5_11:
	s_or_b64 exec, exec, s[14:15]
	v_cmp_neq_f64_e32 vcc, 0, v[11:12]
	s_and_saveexec_b64 s[14:15], vcc
	s_cbranch_execz .LBB5_19
; %bb.12:
	v_cmp_ngt_f64_e32 vcc, 0, v[11:12]
	v_mov_b32_e32 v3, 0
	v_mov_b32_e32 v4, 0x7ff80000
	s_and_saveexec_b64 s[16:17], vcc
	s_cbranch_execz .LBB5_18
; %bb.13:
	v_cmp_ge_f64_e32 vcc, 2.0, v[11:12]
	s_and_saveexec_b64 s[4:5], vcc
	s_xor_b64 s[18:19], exec, s[4:5]
	s_cbranch_execz .LBB5_15
; %bb.14:
	v_fma_f64 v[3:4], v[11:12], 0.5, -2.0
	v_mov_b32_e32 v9, 0x977da589
	v_mov_b32_e32 v10, 0x3c833362
	s_mov_b32 s5, 0xbc545cb7
	s_mov_b32 s4, 0x2134d0ef
	v_mul_f64 v[16:17], v[11:12], 0.5
	s_mov_b32 s20, 0x7a946abc
	s_mov_b32 s21, 0xbdb2fc95
	v_fma_f64 v[9:10], v[3:4], s[4:5], v[9:10]
	s_mov_b32 s5, 0x3c545cb7
	s_mov_b32 s22, 0xd7f4df2e
	;; [unrolled: 1-line block ×4, first 2 shown]
	v_frexp_mant_f64_e32 v[18:19], v[16:17]
	s_mov_b32 s37, 0xbf42e2fd
	s_mov_b32 s34, 0x9b27acf1
	v_fma_f64 v[13:14], v[3:4], v[9:10], s[4:5]
	s_mov_b32 s4, 0x721ebbb4
	s_mov_b32 s5, 0xbcb184eb
	;; [unrolled: 1-line block ×7, first 2 shown]
	v_add_f64 v[13:14], v[13:14], s[4:5]
	s_mov_b32 s4, 0x93f65eba
	s_mov_b32 s5, 0x3cdee6d8
	;; [unrolled: 1-line block ×7, first 2 shown]
	v_fma_f64 v[9:10], v[3:4], v[13:14], -v[9:10]
	s_mov_b32 s41, 0x3c7abc9e
	s_mov_b32 s40, 0x3b39803f
	;; [unrolled: 1-line block ×5, first 2 shown]
	v_add_f64 v[9:10], v[9:10], s[4:5]
	s_mov_b32 s4, 0xc297fbeb
	s_mov_b32 s5, 0xbd0a5022
	v_fma_f64 v[13:14], v[3:4], v[9:10], -v[13:14]
	v_add_f64 v[13:14], v[13:14], s[4:5]
	s_mov_b32 s4, 0x4b262627
	s_mov_b32 s5, 0x3d359b46
	v_fma_f64 v[9:10], v[3:4], v[13:14], -v[9:10]
	;; [unrolled: 4-line block ×4, first 2 shown]
	v_add_f64 v[9:10], v[9:10], s[4:5]
	s_mov_b32 s5, 0x3fe55555
	s_mov_b32 s4, 0x55555555
	v_cmp_gt_f64_e32 vcc, s[4:5], v[18:19]
	s_mov_b32 s4, 0x55555780
	v_fma_f64 v[13:14], v[3:4], v[9:10], -v[13:14]
	v_cndmask_b32_e64 v20, 0, 1, vcc
	v_ldexp_f64 v[18:19], v[18:19], v20
	v_add_f64 v[13:14], v[13:14], s[20:21]
	s_mov_b32 s20, 0xcc743c10
	s_mov_b32 s21, 0x3dda98be
	v_add_f64 v[20:21], v[18:19], 1.0
	v_add_f64 v[26:27], v[18:19], -1.0
	v_fma_f64 v[9:10], v[3:4], v[13:14], -v[9:10]
	v_rcp_f64_e32 v[22:23], v[20:21]
	v_add_f64 v[28:29], v[20:21], -1.0
	v_add_f64 v[9:10], v[9:10], s[20:21]
	s_mov_b32 s20, 0x13ae9556
	s_mov_b32 s21, 0xbe01d4fe
	v_add_f64 v[18:19], v[18:19], -v[28:29]
	v_fma_f64 v[13:14], v[3:4], v[9:10], -v[13:14]
	v_fma_f64 v[24:25], -v[20:21], v[22:23], 1.0
	v_add_f64 v[13:14], v[13:14], s[20:21]
	s_mov_b32 s20, 0xa454cb34
	s_mov_b32 s21, 0x3e26d903
	v_fma_f64 v[22:23], v[24:25], v[22:23], v[22:23]
	v_fma_f64 v[9:10], v[3:4], v[13:14], -v[9:10]
	v_fma_f64 v[24:25], -v[20:21], v[22:23], 1.0
	v_add_f64 v[9:10], v[9:10], s[20:21]
	s_mov_b32 s20, 0x8c0b30ab
	s_mov_b32 s21, 0xbe4beaf6
	v_fma_f64 v[22:23], v[24:25], v[22:23], v[22:23]
	v_fma_f64 v[13:14], v[3:4], v[9:10], -v[13:14]
	v_mul_f64 v[24:25], v[26:27], v[22:23]
	v_add_f64 v[13:14], v[13:14], s[20:21]
	s_mov_b32 s20, 0x9d4d6435
	s_mov_b32 s21, 0x3e703b76
	v_mul_f64 v[30:31], v[20:21], v[24:25]
	v_fma_f64 v[9:10], v[3:4], v[13:14], -v[9:10]
	v_fma_f64 v[20:21], v[24:25], v[20:21], -v[30:31]
	v_add_f64 v[9:10], v[9:10], s[20:21]
	s_mov_b32 s20, 0x8f227f8d
	s_mov_b32 s21, 0xbe91ec63
	v_fma_f64 v[18:19], v[24:25], v[18:19], v[20:21]
	v_fma_f64 v[13:14], v[3:4], v[9:10], -v[13:14]
	v_add_f64 v[20:21], v[30:31], v[18:19]
	v_add_f64 v[13:14], v[13:14], s[20:21]
	s_mov_b32 s20, 0x978cf4ac
	s_mov_b32 s21, 0x3eb2bf24
	v_add_f64 v[28:29], v[26:27], -v[20:21]
	v_add_f64 v[30:31], v[20:21], -v[30:31]
	v_fma_f64 v[9:10], v[3:4], v[13:14], -v[9:10]
	v_add_f64 v[26:27], v[26:27], -v[28:29]
	v_add_f64 v[18:19], v[30:31], -v[18:19]
	v_add_f64 v[9:10], v[9:10], s[20:21]
	s_mov_b32 s20, 0xcba56427
	s_mov_b32 s21, 0xbed2866f
	v_add_f64 v[20:21], v[26:27], -v[20:21]
	v_fma_f64 v[13:14], v[3:4], v[9:10], -v[13:14]
	v_add_f64 v[18:19], v[18:19], v[20:21]
	v_fma_f64 v[20:21], v[11:12], v[11:12], -2.0
	v_add_f64 v[13:14], v[13:14], s[20:21]
	s_mov_b32 s20, 0xbe9a2859
	s_mov_b32 s21, 0x3ef13f58
	v_add_f64 v[18:19], v[28:29], v[18:19]
	v_mov_b32_e32 v28, 0x6b47b09a
	v_mov_b32_e32 v29, 0x3fc38538
	v_fma_f64 v[9:10], v[3:4], v[13:14], -v[9:10]
	v_mul_f64 v[18:19], v[22:23], v[18:19]
	v_mov_b32_e32 v22, 0xc384c2aa
	v_mov_b32_e32 v23, 0x3d27fb0a
	v_fma_f64 v[22:23], v[20:21], s[28:29], v[22:23]
	v_add_f64 v[9:10], v[9:10], s[20:21]
	s_mov_b32 s20, 0x59c41d5a
	s_mov_b32 s21, 0xbf0e2b26
	;; [unrolled: 1-line block ×3, first 2 shown]
	v_add_f64 v[26:27], v[24:25], v[18:19]
	v_fma_f64 v[36:37], v[20:21], v[22:23], s[28:29]
	v_fma_f64 v[13:14], v[3:4], v[9:10], -v[13:14]
	s_mov_b32 s28, 0x6a5dcb37
	s_mov_b32 s29, 0x3e5ade15
	v_mul_f64 v[30:31], v[26:27], v[26:27]
	v_add_f64 v[24:25], v[26:27], -v[24:25]
	v_add_f64 v[36:37], v[36:37], s[30:31]
	v_add_f64 v[13:14], v[13:14], s[20:21]
	s_mov_b32 s20, 0xbf559e2b
	s_mov_b32 s21, 0x3fc3ab76
	;; [unrolled: 1-line block ×3, first 2 shown]
	v_fma_f64 v[28:29], v[30:31], s[20:21], v[28:29]
	s_mov_b32 s20, 0x74107cab
	s_mov_b32 s21, 0x3f28b51b
	v_mul_f64 v[32:33], v[26:27], v[30:31]
	v_fma_f64 v[9:10], v[3:4], v[13:14], -v[9:10]
	v_add_f64 v[18:19], v[18:19], -v[24:25]
	v_fma_f64 v[22:23], v[20:21], v[36:37], -v[22:23]
	s_mov_b32 s31, 0xbf984e9e
	v_fma_f64 v[28:29], v[30:31], v[28:29], s[22:23]
	s_mov_b32 s22, 0xfe8cfca0
	s_mov_b32 s23, 0x3ef7f900
	v_add_f64 v[9:10], v[9:10], s[20:21]
	s_mov_b32 s20, 0x16291751
	s_mov_b32 s21, 0x3fcc71c0
	v_ldexp_f64 v[18:19], v[18:19], 1
	v_fma_f64 v[28:29], v[30:31], v[28:29], s[20:21]
	v_add_f64 v[22:23], v[22:23], s[26:27]
	s_mov_b32 s26, 0x623fde64
	s_mov_b32 s27, 0x3ec71dee
	v_fma_f64 v[13:14], v[3:4], v[9:10], -v[13:14]
	s_mov_b32 s20, 0x75633d73
	s_mov_b32 s21, 0x3f54b82e
	v_fma_f64 v[28:29], v[30:31], v[28:29], s[34:35]
	s_mov_b32 s34, 0x8a12100e
	s_mov_b32 s35, 0x3f5adc75
	v_fma_f64 v[36:37], v[20:21], v[22:23], -v[36:37]
	v_add_f64 v[13:14], v[13:14], s[36:37]
	s_mov_b32 s36, 0x998ef7b6
	s_mov_b32 s37, 0x3fd99999
	v_fma_f64 v[28:29], v[30:31], v[28:29], s[36:37]
	s_mov_b32 s36, 0x652b82fe
	s_mov_b32 s37, 0x3ff71547
	v_mul_f64 v[34:35], v[11:12], s[36:37]
	v_fma_f64 v[9:10], v[3:4], v[13:14], -v[9:10]
	v_add_f64 v[36:37], v[36:37], s[24:25]
	s_mov_b32 s24, 0x342d06ea
	s_mov_b32 s25, 0xbfb84b70
	v_fma_f64 v[28:29], v[30:31], v[28:29], s[4:5]
	v_ldexp_f64 v[30:31], v[26:27], 1
	s_mov_b32 s4, 0x554a9085
	s_mov_b32 s5, 0x3fa26bf6
	v_add_f64 v[9:10], v[9:10], s[34:35]
	s_mov_b32 s34, 0xf3dde3dd
	s_mov_b32 s35, 0x3f859961
	v_fma_f64 v[22:23], v[20:21], v[36:37], -v[22:23]
	v_mul_f64 v[28:29], v[32:33], v[28:29]
	v_frexp_exp_i32_f64_e32 v33, v[16:17]
	v_mov_b32_e32 v32, 0xfca7ab0c
	v_fma_f64 v[13:14], v[3:4], v[9:10], -v[13:14]
	v_add_f64 v[22:23], v[22:23], s[22:23]
	v_add_f64 v[26:27], v[30:31], v[28:29]
	v_subbrev_co_u32_e32 v33, vcc, 0, v33, vcc
	v_cvt_f64_i32_e32 v[38:39], v33
	v_add_f64 v[13:14], v[13:14], s[42:43]
	v_mov_b32_e32 v33, 0x3e928af3
	s_mov_b32 s22, 0x555502a1
	v_mul_f64 v[40:41], v[38:39], s[38:39]
	v_add_f64 v[24:25], v[26:27], -v[30:31]
	v_rndne_f64_e32 v[30:31], v[34:35]
	s_mov_b32 s23, 0x3fa55555
	v_fma_f64 v[9:10], v[3:4], v[13:14], -v[9:10]
	v_fma_f64 v[34:35], v[38:39], s[38:39], -v[40:41]
	s_mov_b32 s39, 0xbfe62e42
	v_add_f64 v[24:25], v[28:29], -v[24:25]
	v_fma_f64 v[11:12], v[30:31], s[38:39], v[11:12]
	v_add_f64 v[9:10], v[9:10], s[34:35]
	s_mov_b32 s34, 0x14761f6e
	s_mov_b32 s35, 0x3f2a01a0
	v_fma_f64 v[28:29], v[38:39], s[40:41], v[34:35]
	s_mov_b32 s41, 0xbc7abc9e
	v_add_f64 v[18:19], v[18:19], v[24:25]
	v_fma_f64 v[11:12], v[30:31], s[40:41], v[11:12]
	v_fma_f64 v[13:14], v[3:4], v[9:10], -v[13:14]
	v_add_f64 v[24:25], v[40:41], v[28:29]
	v_add_f64 v[34:35], v[26:27], v[18:19]
	v_fma_f64 v[32:33], v[11:12], s[28:29], v[32:33]
	s_mov_b32 s28, 0x7c89e6b0
	v_add_f64 v[13:14], v[13:14], s[30:31]
	s_mov_b32 s30, 0xcea8a32d
	s_mov_b32 s31, 0x3fa93e8a
	;; [unrolled: 1-line block ×3, first 2 shown]
	v_add_f64 v[40:41], v[24:25], -v[40:41]
	v_add_f64 v[38:39], v[24:25], v[34:35]
	v_fma_f64 v[32:33], v[11:12], v[32:33], s[26:27]
	v_add_f64 v[26:27], v[34:35], -v[26:27]
	v_fma_f64 v[9:10], v[3:4], v[13:14], -v[9:10]
	s_mov_b32 s26, 0x1852b7b0
	s_mov_b32 s27, 0x3f56c16c
	v_add_f64 v[28:29], v[28:29], -v[40:41]
	v_add_f64 v[42:43], v[38:39], -v[24:25]
	v_fma_f64 v[32:33], v[11:12], v[32:33], s[28:29]
	v_add_f64 v[18:19], v[18:19], -v[26:27]
	v_add_f64 v[9:10], v[9:10], s[30:31]
	s_mov_b32 s28, 0x11122322
	s_mov_b32 s29, 0x3f811111
	v_add_f64 v[44:45], v[38:39], -v[42:43]
	v_fma_f64 v[32:33], v[11:12], v[32:33], s[34:35]
	v_add_f64 v[26:27], v[34:35], -v[42:43]
	v_fma_f64 v[13:14], v[3:4], v[9:10], -v[13:14]
	v_fma_f64 v[34:35], v[20:21], v[22:23], -v[36:37]
	v_add_f64 v[36:37], v[28:29], v[18:19]
	v_add_f64 v[24:25], v[24:25], -v[44:45]
	v_fma_f64 v[32:33], v[11:12], v[32:33], s[26:27]
	v_add_f64 v[13:14], v[13:14], s[24:25]
	s_mov_b32 s24, 0x77ac88c0
	s_mov_b32 s25, 0x3fc5f7ac
	v_add_f64 v[24:25], v[26:27], v[24:25]
	v_add_f64 v[26:27], v[34:35], s[20:21]
	v_fma_f64 v[32:33], v[11:12], v[32:33], s[28:29]
	v_fma_f64 v[9:10], v[3:4], v[13:14], -v[9:10]
	v_add_f64 v[34:35], v[36:37], -v[28:29]
	s_mov_b32 s20, 0x55555511
	s_mov_b32 s21, 0x3fc55555
	v_add_f64 v[24:25], v[36:37], v[24:25]
	v_fma_f64 v[22:23], v[20:21], v[26:27], -v[22:23]
	v_fma_f64 v[32:33], v[11:12], v[32:33], s[22:23]
	v_add_f64 v[9:10], v[9:10], s[24:25]
	s_mov_b32 s22, 0xc057cd8d
	s_mov_b32 s23, 0xbfd37feb
	v_add_f64 v[36:37], v[36:37], -v[34:35]
	v_add_f64 v[18:19], v[18:19], -v[34:35]
	v_add_f64 v[40:41], v[38:39], v[24:25]
	v_add_f64 v[22:23], v[22:23], s[4:5]
	v_fma_f64 v[32:33], v[11:12], v[32:33], s[20:21]
	v_fma_f64 v[13:14], v[3:4], v[9:10], -v[13:14]
	s_mov_b32 s4, 11
	s_mov_b32 s5, 0x3fe00000
	v_add_f64 v[28:29], v[28:29], -v[36:37]
	s_mov_b32 s24, 0x81213db9
	v_add_f64 v[34:35], v[40:41], -v[38:39]
	v_fma_f64 v[26:27], v[20:21], v[22:23], -v[26:27]
	v_fma_f64 v[32:33], v[11:12], v[32:33], s[4:5]
	v_add_f64 v[13:14], v[13:14], s[22:23]
	s_mov_b32 s4, 0x9035a22a
	s_mov_b32 s25, 0x3fd608d8
	;; [unrolled: 1-line block ×3, first 2 shown]
	v_fma_f64 v[3:4], v[3:4], v[13:14], -v[9:10]
	v_add_f64 v[13:14], v[18:19], v[28:29]
	v_add_f64 v[18:19], v[24:25], -v[34:35]
	v_add_f64 v[24:25], v[26:27], s[24:25]
	v_fma_f64 v[26:27], v[11:12], v[32:33], 1.0
	v_add_f64 v[3:4], v[3:4], s[4:5]
	s_mov_b32 s4, 0xe9d2f61f
	v_add_f64 v[13:14], v[13:14], v[18:19]
	v_fma_f64 v[18:19], v[20:21], v[24:25], -v[22:23]
	v_fma_f64 v[11:12], v[11:12], v[26:27], 1.0
	v_cvt_i32_f64_e32 v20, v[30:31]
	s_mov_b32 s5, 0xbfe12166
	v_add_f64 v[3:4], v[3:4], -v[9:10]
	v_add_f64 v[9:10], v[40:41], v[13:14]
	v_add_f64 v[13:14], v[18:19], s[4:5]
	v_ldexp_f64 v[11:12], v[11:12], v20
	s_mov_b32 s4, 0
	s_mov_b32 s5, 0x7ff00000
	v_cmp_neq_f64_e32 vcc, s[4:5], v[16:17]
	v_mul_f64 v[3:4], v[3:4], 0.5
	v_cmp_neq_f64_e64 s[4:5], 0, v[16:17]
	v_mov_b32_e32 v18, 0x7ff00000
	v_add_f64 v[13:14], v[13:14], -v[22:23]
	v_cndmask_b32_e32 v10, v18, v10, vcc
	v_mul_f64 v[3:4], v[11:12], v[3:4]
	v_mov_b32_e32 v18, 0xfff00000
	s_and_b64 vcc, s[4:5], vcc
	v_cndmask_b32_e64 v10, v18, v10, s[4:5]
	v_cndmask_b32_e32 v9, 0, v9, vcc
	v_mul_f64 v[3:4], v[9:10], v[3:4]
	v_fma_f64 v[3:4], v[13:14], 0.5, -v[3:4]
	v_mul_f64 v[3:4], v[11:12], v[3:4]
                                        ; implicit-def: $vgpr11_vgpr12
.LBB5_15:
	s_andn2_saveexec_b64 s[4:5], s[18:19]
	s_cbranch_execz .LBB5_17
; %bb.16:
	s_mov_b32 s18, 0
	s_mov_b32 s19, 0x40200000
	v_div_scale_f64 v[3:4], s[20:21], v[11:12], v[11:12], s[18:19]
	v_rcp_f64_e32 v[9:10], v[3:4]
	v_fma_f64 v[13:14], -v[3:4], v[9:10], 1.0
	v_fma_f64 v[9:10], v[9:10], v[13:14], v[9:10]
	v_div_scale_f64 v[13:14], vcc, s[18:19], v[11:12], s[18:19]
	v_fma_f64 v[16:17], -v[3:4], v[9:10], 1.0
	v_fma_f64 v[9:10], v[9:10], v[16:17], v[9:10]
	v_mul_f64 v[16:17], v[13:14], v[9:10]
	v_fma_f64 v[3:4], -v[3:4], v[16:17], v[13:14]
	v_div_fmas_f64 v[3:4], v[3:4], v[9:10], v[16:17]
	v_mov_b32_e32 v9, 0x93812603
	v_mov_b32_e32 v10, 0xbc72fecc
	;; [unrolled: 1-line block ×3, first 2 shown]
	v_div_fixup_f64 v[3:4], v[3:4], v[11:12], s[18:19]
	s_mov_b32 s19, 0x3c5871a5
	s_mov_b32 s18, 0xcf8c9ee1
	v_add_f64 v[3:4], v[3:4], -2.0
	v_fma_f64 v[9:10], v[3:4], s[18:19], v[9:10]
	s_mov_b32 s19, 0xbc5871a5
	v_fma_f64 v[13:14], v[3:4], v[9:10], s[18:19]
	s_mov_b32 s18, 0x41a8cdf4
	s_mov_b32 s19, 0x3c8e092e
	v_add_f64 v[13:14], v[13:14], s[18:19]
	s_mov_b32 s18, 0x74d77641
	s_mov_b32 s19, 0xbca82f94
	v_fma_f64 v[9:10], v[3:4], v[13:14], -v[9:10]
	v_add_f64 v[9:10], v[9:10], s[18:19]
	s_mov_b32 s18, 0x6b94785b
	s_mov_b32 s19, 0x3cc3dbf9
	v_fma_f64 v[13:14], v[3:4], v[9:10], -v[13:14]
	v_add_f64 v[13:14], v[13:14], s[18:19]
	s_mov_b32 s18, 0xecfadd36
	s_mov_b32 s19, 0xbce0a690
	v_fma_f64 v[9:10], v[3:4], v[13:14], -v[9:10]
	v_add_f64 v[9:10], v[9:10], s[18:19]
	s_mov_b32 s18, 0x4a7ddc98
	s_mov_b32 s19, 0x3cfc8d9c
	v_fma_f64 v[13:14], v[3:4], v[9:10], -v[13:14]
	v_add_f64 v[13:14], v[13:14], s[18:19]
	s_mov_b32 s18, 0xbb056fc2
	s_mov_b32 s19, 0xbd19145e
	v_fma_f64 v[9:10], v[3:4], v[13:14], -v[9:10]
	v_add_f64 v[9:10], v[9:10], s[18:19]
	s_mov_b32 s18, 0xcd94cfe2
	s_mov_b32 s19, 0x3d369c4e
	v_fma_f64 v[13:14], v[3:4], v[9:10], -v[13:14]
	v_add_f64 v[13:14], v[13:14], s[18:19]
	s_mov_b32 s18, 0x21a470d1
	s_mov_b32 s19, 0xbd54f877
	v_fma_f64 v[9:10], v[3:4], v[13:14], -v[9:10]
	v_add_f64 v[9:10], v[9:10], s[18:19]
	s_mov_b32 s18, 0x2fccfc25
	s_mov_b32 s19, 0x3d740fa3
	v_fma_f64 v[13:14], v[3:4], v[9:10], -v[13:14]
	v_add_f64 v[13:14], v[13:14], s[18:19]
	s_mov_b32 s18, 0x3f005143
	s_mov_b32 s19, 0xbd93dafc
	v_fma_f64 v[9:10], v[3:4], v[13:14], -v[9:10]
	v_add_f64 v[9:10], v[9:10], s[18:19]
	s_mov_b32 s18, 0x475fbcc7
	s_mov_b32 s19, 0x3db46808
	v_fma_f64 v[13:14], v[3:4], v[9:10], -v[13:14]
	v_add_f64 v[13:14], v[13:14], s[18:19]
	s_mov_b32 s18, 0xd2e7c935
	s_mov_b32 s19, 0xbdd5df95
	v_fma_f64 v[9:10], v[3:4], v[13:14], -v[9:10]
	v_add_f64 v[9:10], v[9:10], s[18:19]
	s_mov_b32 s18, 0x819ff608
	s_mov_b32 s19, 0x3df8956c
	v_fma_f64 v[13:14], v[3:4], v[9:10], -v[13:14]
	v_add_f64 v[13:14], v[13:14], s[18:19]
	s_mov_b32 s18, 0xf22bf5db
	s_mov_b32 s19, 0xbe1d29d5
	v_fma_f64 v[9:10], v[3:4], v[13:14], -v[9:10]
	v_add_f64 v[9:10], v[9:10], s[18:19]
	s_mov_b32 s18, 0x33f428e
	s_mov_b32 s19, 0x3e4269a0
	v_fma_f64 v[13:14], v[3:4], v[9:10], -v[13:14]
	v_add_f64 v[13:14], v[13:14], s[18:19]
	s_mov_b32 s18, 0x1b54f2af
	s_mov_b32 s19, 0xbe690554
	v_fma_f64 v[9:10], v[3:4], v[13:14], -v[9:10]
	v_add_f64 v[9:10], v[9:10], s[18:19]
	s_mov_b32 s18, 0x81e3e46f
	s_mov_b32 s19, 0x3e929159
	v_fma_f64 v[13:14], v[3:4], v[9:10], -v[13:14]
	v_add_f64 v[13:14], v[13:14], s[18:19]
	s_mov_b32 s18, 0x7f18d3a9
	s_mov_b32 s19, 0xbebebb54
	v_fma_f64 v[9:10], v[3:4], v[13:14], -v[9:10]
	v_add_f64 v[9:10], v[9:10], s[18:19]
	s_mov_b32 s18, 0
	s_brev_b32 s19, 8
	v_cmp_gt_f64_e32 vcc, s[18:19], v[11:12]
	s_mov_b32 s18, 0xcc7470a9
	s_mov_b32 s19, 0x3eed413f
	v_fma_f64 v[13:14], v[3:4], v[9:10], -v[13:14]
	v_cndmask_b32_e32 v16, 0, v16, vcc
	v_ldexp_f64 v[11:12], v[11:12], v16
	v_add_f64 v[13:14], v[13:14], s[18:19]
	s_mov_b32 s18, 0xe7889f42
	s_mov_b32 s19, 0xbf20d797
	v_rsq_f64_e32 v[16:17], v[11:12]
	v_fma_f64 v[9:10], v[3:4], v[13:14], -v[9:10]
	v_add_f64 v[9:10], v[9:10], s[18:19]
	s_mov_b32 s18, 0xfca79342
	s_mov_b32 s19, 0x3f59b891
	v_mul_f64 v[18:19], v[11:12], v[16:17]
	v_mul_f64 v[16:17], v[16:17], 0.5
	v_fma_f64 v[13:14], v[3:4], v[9:10], -v[13:14]
	v_fma_f64 v[20:21], -v[16:17], v[18:19], 0.5
	v_add_f64 v[13:14], v[13:14], s[18:19]
	s_mov_b32 s18, 0x2d4ff71e
	s_mov_b32 s19, 0xbfa019f7
	v_fma_f64 v[18:19], v[18:19], v[20:21], v[18:19]
	v_fma_f64 v[16:17], v[16:17], v[20:21], v[16:17]
	v_fma_f64 v[9:10], v[3:4], v[13:14], -v[9:10]
	v_fma_f64 v[20:21], -v[18:19], v[18:19], v[11:12]
	v_add_f64 v[9:10], v[9:10], s[18:19]
	s_mov_b32 s18, 0x9f4e6907
	s_mov_b32 s19, 0x400385bd
	v_fma_f64 v[18:19], v[20:21], v[16:17], v[18:19]
	v_fma_f64 v[3:4], v[3:4], v[9:10], -v[13:14]
	v_fma_f64 v[9:10], -v[18:19], v[18:19], v[11:12]
	v_add_f64 v[3:4], v[3:4], s[18:19]
	v_fma_f64 v[9:10], v[9:10], v[16:17], v[18:19]
	v_add_f64 v[3:4], v[3:4], -v[13:14]
	v_mov_b32_e32 v13, 0xffffff80
	v_mov_b32_e32 v14, 0x260
	v_cndmask_b32_e32 v13, 0, v13, vcc
	v_cmp_class_f64_e32 vcc, v[11:12], v14
	v_ldexp_f64 v[9:10], v[9:10], v13
	v_mul_f64 v[3:4], v[3:4], 0.5
	v_cndmask_b32_e32 v10, v10, v12, vcc
	v_cndmask_b32_e32 v9, v9, v11, vcc
	v_div_scale_f64 v[11:12], s[18:19], v[9:10], v[9:10], v[3:4]
	v_div_scale_f64 v[18:19], vcc, v[3:4], v[9:10], v[3:4]
	v_rcp_f64_e32 v[13:14], v[11:12]
	v_fma_f64 v[16:17], -v[11:12], v[13:14], 1.0
	v_fma_f64 v[13:14], v[13:14], v[16:17], v[13:14]
	v_fma_f64 v[16:17], -v[11:12], v[13:14], 1.0
	v_fma_f64 v[13:14], v[13:14], v[16:17], v[13:14]
	v_mul_f64 v[16:17], v[18:19], v[13:14]
	v_fma_f64 v[11:12], -v[11:12], v[16:17], v[18:19]
	v_div_fmas_f64 v[11:12], v[11:12], v[13:14], v[16:17]
	v_div_fixup_f64 v[3:4], v[11:12], v[9:10], v[3:4]
.LBB5_17:
	s_or_b64 exec, exec, s[4:5]
.LBB5_18:
	s_or_b64 exec, exec, s[16:17]
.LBB5_19:
	s_or_b64 exec, exec, s[14:15]
	s_waitcnt vmcnt(0)
	v_cmp_neq_f64_e32 vcc, 0, v[5:6]
	v_mov_b32_e32 v11, 0
	v_mov_b32_e32 v9, 0
	;; [unrolled: 1-line block ×4, first 2 shown]
	s_and_saveexec_b64 s[14:15], vcc
	s_cbranch_execz .LBB5_27
; %bb.20:
	v_cmp_ngt_f64_e32 vcc, 0, v[5:6]
	v_mov_b32_e32 v9, 0
	v_mov_b32_e32 v10, 0x7ff80000
	s_and_saveexec_b64 s[16:17], vcc
	s_cbranch_execz .LBB5_26
; %bb.21:
	v_cmp_ge_f64_e32 vcc, 2.0, v[5:6]
	s_and_saveexec_b64 s[4:5], vcc
	s_xor_b64 s[18:19], exec, s[4:5]
	s_cbranch_execz .LBB5_23
; %bb.22:
	v_fma_f64 v[9:10], v[5:6], 0.5, -2.0
	v_mov_b32_e32 v13, 0x977da589
	v_mov_b32_e32 v14, 0x3c833362
	s_mov_b32 s5, 0xbc545cb7
	s_mov_b32 s4, 0x2134d0ef
	;; [unrolled: 1-line block ×5, first 2 shown]
	v_fma_f64 v[13:14], v[9:10], s[4:5], v[13:14]
	s_mov_b32 s5, 0x3c545cb7
	s_mov_b32 s40, 0x8a12100e
	;; [unrolled: 1-line block ×7, first 2 shown]
	v_fma_f64 v[16:17], v[9:10], v[13:14], s[4:5]
	s_mov_b32 s4, 0x721ebbb4
	s_mov_b32 s5, 0xbcb184eb
	;; [unrolled: 1-line block ×7, first 2 shown]
	v_add_f64 v[16:17], v[16:17], s[4:5]
	s_mov_b32 s4, 0x93f65eba
	s_mov_b32 s5, 0x3cdee6d8
	;; [unrolled: 1-line block ×7, first 2 shown]
	v_fma_f64 v[13:14], v[9:10], v[16:17], -v[13:14]
	s_mov_b32 s23, 0x3ef7f900
	s_mov_b32 s20, 0x75633d73
	;; [unrolled: 1-line block ×3, first 2 shown]
	v_add_f64 v[13:14], v[13:14], s[4:5]
	s_mov_b32 s4, 0xc297fbeb
	s_mov_b32 s5, 0xbd0a5022
	v_fma_f64 v[16:17], v[9:10], v[13:14], -v[16:17]
	v_add_f64 v[16:17], v[16:17], s[4:5]
	s_mov_b32 s4, 0x4b262627
	s_mov_b32 s5, 0x3d359b46
	v_fma_f64 v[13:14], v[9:10], v[16:17], -v[13:14]
	;; [unrolled: 4-line block ×4, first 2 shown]
	v_add_f64 v[18:19], v[13:14], s[4:5]
	v_mul_f64 v[13:14], v[5:6], 0.5
	s_mov_b32 s4, 0x7a946abc
	s_mov_b32 s5, 0xbdb2fc95
	v_fma_f64 v[16:17], v[9:10], v[18:19], -v[16:17]
	v_frexp_mant_f64_e32 v[20:21], v[13:14]
	v_add_f64 v[16:17], v[16:17], s[4:5]
	v_cmp_gt_f64_e32 vcc, s[26:27], v[20:21]
	s_mov_b32 s4, 0xcc743c10
	s_mov_b32 s5, 0x3dda98be
	;; [unrolled: 1-line block ×3, first 2 shown]
	v_fma_f64 v[18:19], v[9:10], v[16:17], -v[18:19]
	v_cndmask_b32_e64 v22, 0, 1, vcc
	v_ldexp_f64 v[20:21], v[20:21], v22
	v_add_f64 v[18:19], v[18:19], s[4:5]
	s_mov_b32 s4, 0x13ae9556
	v_add_f64 v[22:23], v[20:21], 1.0
	s_mov_b32 s5, 0xbe01d4fe
	v_add_f64 v[28:29], v[20:21], -1.0
	v_fma_f64 v[16:17], v[9:10], v[18:19], -v[16:17]
	v_rcp_f64_e32 v[24:25], v[22:23]
	v_add_f64 v[30:31], v[22:23], -1.0
	v_add_f64 v[16:17], v[16:17], s[4:5]
	s_mov_b32 s4, 0xa454cb34
	s_mov_b32 s5, 0x3e26d903
	v_add_f64 v[20:21], v[20:21], -v[30:31]
	v_fma_f64 v[18:19], v[9:10], v[16:17], -v[18:19]
	v_fma_f64 v[26:27], -v[22:23], v[24:25], 1.0
	v_add_f64 v[18:19], v[18:19], s[4:5]
	s_mov_b32 s4, 0x8c0b30ab
	v_fma_f64 v[24:25], v[26:27], v[24:25], v[24:25]
	s_mov_b32 s5, 0xbe4beaf6
	v_fma_f64 v[16:17], v[9:10], v[18:19], -v[16:17]
	v_fma_f64 v[26:27], -v[22:23], v[24:25], 1.0
	v_add_f64 v[16:17], v[16:17], s[4:5]
	s_mov_b32 s4, 0x9d4d6435
	v_fma_f64 v[24:25], v[26:27], v[24:25], v[24:25]
	s_mov_b32 s5, 0x3e703b76
	v_fma_f64 v[18:19], v[9:10], v[16:17], -v[18:19]
	v_mul_f64 v[26:27], v[28:29], v[24:25]
	v_add_f64 v[18:19], v[18:19], s[4:5]
	s_mov_b32 s4, 0x8f227f8d
	v_mul_f64 v[32:33], v[22:23], v[26:27]
	s_mov_b32 s5, 0xbe91ec63
	v_fma_f64 v[16:17], v[9:10], v[18:19], -v[16:17]
	v_fma_f64 v[22:23], v[26:27], v[22:23], -v[32:33]
	v_add_f64 v[16:17], v[16:17], s[4:5]
	s_mov_b32 s4, 0x978cf4ac
	v_fma_f64 v[20:21], v[26:27], v[20:21], v[22:23]
	s_mov_b32 s5, 0x3eb2bf24
	v_fma_f64 v[18:19], v[9:10], v[16:17], -v[18:19]
	v_add_f64 v[22:23], v[32:33], v[20:21]
	v_add_f64 v[18:19], v[18:19], s[4:5]
	s_mov_b32 s4, 0xcba56427
	v_add_f64 v[30:31], v[28:29], -v[22:23]
	v_add_f64 v[32:33], v[22:23], -v[32:33]
	s_mov_b32 s5, 0xbed2866f
	v_fma_f64 v[16:17], v[9:10], v[18:19], -v[16:17]
	v_add_f64 v[28:29], v[28:29], -v[30:31]
	v_add_f64 v[20:21], v[32:33], -v[20:21]
	v_mov_b32_e32 v32, 0x6b47b09a
	v_mov_b32_e32 v33, 0x3fc38538
	v_add_f64 v[16:17], v[16:17], s[4:5]
	s_mov_b32 s4, 0xbe9a2859
	v_add_f64 v[22:23], v[28:29], -v[22:23]
	s_mov_b32 s5, 0x3ef13f58
	v_mov_b32_e32 v28, 0xc384c2aa
	v_mov_b32_e32 v29, 0x3d27fb0a
	v_fma_f64 v[18:19], v[9:10], v[16:17], -v[18:19]
	v_add_f64 v[20:21], v[20:21], v[22:23]
	v_add_f64 v[18:19], v[18:19], s[4:5]
	s_mov_b32 s4, 0x59c41d5a
	v_add_f64 v[20:21], v[30:31], v[20:21]
	s_mov_b32 s5, 0xbf0e2b26
	v_fma_f64 v[16:17], v[9:10], v[18:19], -v[16:17]
	v_mul_f64 v[20:21], v[24:25], v[20:21]
	v_fma_f64 v[24:25], v[5:6], v[5:6], -2.0
	v_add_f64 v[16:17], v[16:17], s[4:5]
	s_mov_b32 s4, 0xbf559e2b
	v_add_f64 v[22:23], v[26:27], v[20:21]
	s_mov_b32 s5, 0x3fc3ab76
	v_fma_f64 v[28:29], v[24:25], s[34:35], v[28:29]
	s_mov_b32 s35, 0xbca3cee1
	v_fma_f64 v[18:19], v[9:10], v[16:17], -v[18:19]
	v_mul_f64 v[30:31], v[22:23], v[22:23]
	v_ldexp_f64 v[36:37], v[22:23], 1
	v_fma_f64 v[40:41], v[24:25], v[28:29], s[34:35]
	s_mov_b32 s34, 0x14761f6e
	s_mov_b32 s35, 0x3f2a01a0
	v_fma_f64 v[32:33], v[30:31], s[4:5], v[32:33]
	s_mov_b32 s4, 0x74107cab
	s_mov_b32 s5, 0x3f28b51b
	v_add_f64 v[18:19], v[18:19], s[4:5]
	s_mov_b32 s4, 0xd7f4df2e
	s_mov_b32 s5, 0x3fc7474d
	v_mul_f64 v[34:35], v[22:23], v[30:31]
	v_add_f64 v[22:23], v[22:23], -v[26:27]
	v_fma_f64 v[32:33], v[30:31], v[32:33], s[4:5]
	s_mov_b32 s4, 0x16291751
	s_mov_b32 s5, 0x3fcc71c0
	v_fma_f64 v[16:17], v[9:10], v[18:19], -v[16:17]
	v_add_f64 v[20:21], v[20:21], -v[22:23]
	v_fma_f64 v[32:33], v[30:31], v[32:33], s[4:5]
	s_mov_b32 s4, 0x1f15eb52
	s_mov_b32 s5, 0xbf42e2fd
	v_add_f64 v[16:17], v[16:17], s[4:5]
	s_mov_b32 s4, 0x9b27acf1
	s_mov_b32 s5, 0x3fd24924
	v_ldexp_f64 v[20:21], v[20:21], 1
	v_fma_f64 v[32:33], v[30:31], v[32:33], s[4:5]
	s_mov_b32 s4, 0x554a9085
	s_mov_b32 s5, 0x3fa26bf6
	v_fma_f64 v[18:19], v[9:10], v[16:17], -v[18:19]
	v_fma_f64 v[32:33], v[30:31], v[32:33], s[36:37]
	s_mov_b32 s37, 0x3c7abc9e
	s_mov_b32 s36, 0x3b39803f
	v_add_f64 v[18:19], v[18:19], s[40:41]
	s_mov_b32 s40, 0x201aa849
	s_mov_b32 s41, 0xbf71b65e
	v_fma_f64 v[30:31], v[30:31], v[32:33], s[26:27]
	v_frexp_exp_i32_f64_e32 v33, v[13:14]
	s_mov_b32 s26, 0x652b82fe
	v_fma_f64 v[16:17], v[9:10], v[18:19], -v[16:17]
	s_mov_b32 s27, 0x3ff71547
	v_mov_b32_e32 v32, 0xfca7ab0c
	v_mul_f64 v[30:31], v[34:35], v[30:31]
	v_mul_f64 v[34:35], v[5:6], s[26:27]
	v_subbrev_co_u32_e32 v33, vcc, 0, v33, vcc
	v_add_f64 v[16:17], v[16:17], s[40:41]
	v_cvt_f64_i32_e32 v[38:39], v33
	s_mov_b32 s26, 0x6a5dcb37
	v_mov_b32_e32 v33, 0x3e928af3
	v_add_f64 v[26:27], v[36:37], v[30:31]
	v_mul_f64 v[42:43], v[38:39], s[38:39]
	v_rndne_f64_e32 v[34:35], v[34:35]
	s_mov_b32 s27, 0x3e5ade15
	v_fma_f64 v[18:19], v[9:10], v[16:17], -v[18:19]
	v_add_f64 v[22:23], v[26:27], -v[36:37]
	v_add_f64 v[36:37], v[40:41], s[30:31]
	v_fma_f64 v[40:41], v[38:39], s[38:39], -v[42:43]
	s_mov_b32 s39, 0xbfe62e42
	v_add_f64 v[18:19], v[18:19], s[42:43]
	v_fma_f64 v[5:6], v[34:35], s[38:39], v[5:6]
	s_mov_b32 s30, 0xf121b6f0
	s_mov_b32 s31, 0xbf984e9e
	v_add_f64 v[22:23], v[30:31], -v[22:23]
	v_fma_f64 v[28:29], v[24:25], v[36:37], -v[28:29]
	v_fma_f64 v[30:31], v[38:39], s[36:37], v[40:41]
	s_mov_b32 s37, 0xbc7abc9e
	v_fma_f64 v[16:17], v[9:10], v[18:19], -v[16:17]
	v_fma_f64 v[5:6], v[34:35], s[36:37], v[5:6]
	v_add_f64 v[20:21], v[20:21], v[22:23]
	v_add_f64 v[22:23], v[28:29], s[28:29]
	v_add_f64 v[28:29], v[42:43], v[30:31]
	s_mov_b32 s28, 0x623fde64
	v_add_f64 v[16:17], v[16:17], s[30:31]
	v_fma_f64 v[32:33], v[5:6], s[26:27], v[32:33]
	s_mov_b32 s30, 0xcea8a32d
	s_mov_b32 s29, 0x3ec71dee
	v_add_f64 v[38:39], v[26:27], v[20:21]
	v_fma_f64 v[36:37], v[24:25], v[22:23], -v[36:37]
	s_mov_b32 s31, 0x3fa93e8a
	s_mov_b32 s26, 0x7c89e6b0
	v_fma_f64 v[18:19], v[9:10], v[16:17], -v[18:19]
	v_fma_f64 v[32:33], v[5:6], v[32:33], s[28:29]
	s_mov_b32 s27, 0x3efa0199
	v_add_f64 v[42:43], v[28:29], -v[42:43]
	v_add_f64 v[40:41], v[28:29], v[38:39]
	v_add_f64 v[36:37], v[36:37], s[24:25]
	s_mov_b32 s24, 0x342d06ea
	s_mov_b32 s25, 0xbfb84b70
	v_add_f64 v[18:19], v[18:19], s[30:31]
	v_fma_f64 v[32:33], v[5:6], v[32:33], s[26:27]
	v_add_f64 v[26:27], v[38:39], -v[26:27]
	s_mov_b32 s26, 0x1852b7b0
	v_add_f64 v[44:45], v[40:41], -v[28:29]
	v_fma_f64 v[22:23], v[24:25], v[36:37], -v[22:23]
	s_mov_b32 s27, 0x3f56c16c
	v_add_f64 v[30:31], v[30:31], -v[42:43]
	v_fma_f64 v[16:17], v[9:10], v[18:19], -v[16:17]
	v_fma_f64 v[32:33], v[5:6], v[32:33], s[34:35]
	v_add_f64 v[20:21], v[20:21], -v[26:27]
	v_add_f64 v[46:47], v[40:41], -v[44:45]
	v_add_f64 v[22:23], v[22:23], s[22:23]
	v_add_f64 v[26:27], v[38:39], -v[44:45]
	s_mov_b32 s22, 0x11122322
	v_add_f64 v[16:17], v[16:17], s[24:25]
	v_fma_f64 v[32:33], v[5:6], v[32:33], s[26:27]
	s_mov_b32 s24, 0x77ac88c0
	s_mov_b32 s23, 0x3f811111
	v_add_f64 v[28:29], v[28:29], -v[46:47]
	v_fma_f64 v[36:37], v[24:25], v[22:23], -v[36:37]
	s_mov_b32 s25, 0x3fc5f7ac
	v_add_f64 v[38:39], v[30:31], v[20:21]
	v_fma_f64 v[18:19], v[9:10], v[16:17], -v[18:19]
	s_mov_b32 s26, 0x555502a1
	s_mov_b32 s27, 0x3fa55555
	v_add_f64 v[26:27], v[26:27], v[28:29]
	v_fma_f64 v[28:29], v[5:6], v[32:33], s[22:23]
	v_add_f64 v[32:33], v[36:37], s[20:21]
	v_add_f64 v[36:37], v[38:39], -v[30:31]
	v_add_f64 v[18:19], v[18:19], s[24:25]
	s_mov_b32 s20, 0x55555511
	s_mov_b32 s22, 0xc057cd8d
	;; [unrolled: 1-line block ×3, first 2 shown]
	v_add_f64 v[26:27], v[38:39], v[26:27]
	v_fma_f64 v[28:29], v[5:6], v[28:29], s[26:27]
	v_fma_f64 v[22:23], v[24:25], v[32:33], -v[22:23]
	s_mov_b32 s23, 0xbfd37feb
	v_fma_f64 v[16:17], v[9:10], v[18:19], -v[16:17]
	v_add_f64 v[38:39], v[38:39], -v[36:37]
	v_add_f64 v[20:21], v[20:21], -v[36:37]
	v_add_f64 v[42:43], v[40:41], v[26:27]
	v_fma_f64 v[28:29], v[5:6], v[28:29], s[20:21]
	v_add_f64 v[22:23], v[22:23], s[4:5]
	s_mov_b32 s4, 11
	v_add_f64 v[16:17], v[16:17], s[22:23]
	s_mov_b32 s5, 0x3fe00000
	v_add_f64 v[30:31], v[30:31], -v[38:39]
	s_mov_b32 s20, 0x81213db9
	v_add_f64 v[36:37], v[42:43], -v[40:41]
	v_fma_f64 v[28:29], v[5:6], v[28:29], s[4:5]
	s_mov_b32 s4, 0x9035a22a
	s_mov_b32 s5, 0x3fe5a84e
	v_fma_f64 v[9:10], v[9:10], v[16:17], -v[18:19]
	v_fma_f64 v[16:17], v[24:25], v[22:23], -v[32:33]
	s_mov_b32 s21, 0x3fd608d8
	v_add_f64 v[20:21], v[20:21], v[30:31]
	v_add_f64 v[26:27], v[26:27], -v[36:37]
	v_fma_f64 v[28:29], v[5:6], v[28:29], 1.0
	v_add_f64 v[9:10], v[9:10], s[4:5]
	v_add_f64 v[16:17], v[16:17], s[20:21]
	s_mov_b32 s4, 0xe9d2f61f
	s_mov_b32 s20, 0
	v_add_f64 v[20:21], v[20:21], v[26:27]
	v_fma_f64 v[5:6], v[5:6], v[28:29], 1.0
	s_mov_b32 s5, 0xbfe12166
	s_mov_b32 s21, 0x7ff00000
	v_add_f64 v[9:10], v[9:10], -v[18:19]
	v_fma_f64 v[16:17], v[24:25], v[16:17], -v[22:23]
	v_cvt_i32_f64_e32 v24, v[34:35]
	v_cmp_neq_f64_e32 vcc, s[20:21], v[13:14]
	v_add_f64 v[18:19], v[42:43], v[20:21]
	v_mov_b32_e32 v20, 0x7ff00000
	v_ldexp_f64 v[5:6], v[5:6], v24
	v_mul_f64 v[9:10], v[9:10], 0.5
	v_add_f64 v[16:17], v[16:17], s[4:5]
	v_cmp_neq_f64_e64 s[4:5], 0, v[13:14]
	v_cndmask_b32_e32 v19, v20, v19, vcc
	v_mov_b32_e32 v20, 0xfff00000
	v_mul_f64 v[9:10], v[5:6], v[9:10]
	v_add_f64 v[13:14], v[16:17], -v[22:23]
	s_and_b64 vcc, s[4:5], vcc
	v_cndmask_b32_e64 v17, v20, v19, s[4:5]
	v_cndmask_b32_e32 v16, 0, v18, vcc
	v_mul_f64 v[9:10], v[16:17], v[9:10]
	v_fma_f64 v[9:10], v[13:14], 0.5, -v[9:10]
	v_mul_f64 v[9:10], v[5:6], v[9:10]
.LBB5_23:
	s_andn2_saveexec_b64 s[4:5], s[18:19]
	s_cbranch_execz .LBB5_25
; %bb.24:
	s_mov_b32 s18, 0
	s_mov_b32 s19, 0x40200000
	v_div_scale_f64 v[9:10], s[20:21], v[5:6], v[5:6], s[18:19]
	v_rcp_f64_e32 v[13:14], v[9:10]
	v_fma_f64 v[16:17], -v[9:10], v[13:14], 1.0
	v_fma_f64 v[13:14], v[13:14], v[16:17], v[13:14]
	v_div_scale_f64 v[16:17], vcc, s[18:19], v[5:6], s[18:19]
	v_fma_f64 v[18:19], -v[9:10], v[13:14], 1.0
	v_fma_f64 v[13:14], v[13:14], v[18:19], v[13:14]
	v_mul_f64 v[18:19], v[16:17], v[13:14]
	v_fma_f64 v[9:10], -v[9:10], v[18:19], v[16:17]
	v_div_fmas_f64 v[9:10], v[9:10], v[13:14], v[18:19]
	v_mov_b32_e32 v13, 0x93812603
	v_mov_b32_e32 v14, 0xbc72fecc
	;; [unrolled: 1-line block ×3, first 2 shown]
	v_div_fixup_f64 v[9:10], v[9:10], v[5:6], s[18:19]
	s_mov_b32 s19, 0x3c5871a5
	s_mov_b32 s18, 0xcf8c9ee1
	v_add_f64 v[9:10], v[9:10], -2.0
	v_fma_f64 v[13:14], v[9:10], s[18:19], v[13:14]
	s_mov_b32 s19, 0xbc5871a5
	v_fma_f64 v[16:17], v[9:10], v[13:14], s[18:19]
	s_mov_b32 s18, 0x41a8cdf4
	s_mov_b32 s19, 0x3c8e092e
	v_add_f64 v[16:17], v[16:17], s[18:19]
	s_mov_b32 s18, 0x74d77641
	s_mov_b32 s19, 0xbca82f94
	v_fma_f64 v[13:14], v[9:10], v[16:17], -v[13:14]
	v_add_f64 v[13:14], v[13:14], s[18:19]
	s_mov_b32 s18, 0x6b94785b
	s_mov_b32 s19, 0x3cc3dbf9
	v_fma_f64 v[16:17], v[9:10], v[13:14], -v[16:17]
	;; [unrolled: 4-line block ×17, first 2 shown]
	v_add_f64 v[13:14], v[13:14], s[18:19]
	s_mov_b32 s18, 0
	s_brev_b32 s19, 8
	v_cmp_gt_f64_e32 vcc, s[18:19], v[5:6]
	s_mov_b32 s18, 0xcc7470a9
	s_mov_b32 s19, 0x3eed413f
	v_fma_f64 v[16:17], v[9:10], v[13:14], -v[16:17]
	v_cndmask_b32_e32 v18, 0, v18, vcc
	v_ldexp_f64 v[5:6], v[5:6], v18
	v_add_f64 v[16:17], v[16:17], s[18:19]
	s_mov_b32 s18, 0xe7889f42
	s_mov_b32 s19, 0xbf20d797
	v_rsq_f64_e32 v[18:19], v[5:6]
	v_fma_f64 v[13:14], v[9:10], v[16:17], -v[13:14]
	v_add_f64 v[13:14], v[13:14], s[18:19]
	s_mov_b32 s18, 0xfca79342
	s_mov_b32 s19, 0x3f59b891
	v_mul_f64 v[20:21], v[5:6], v[18:19]
	v_mul_f64 v[18:19], v[18:19], 0.5
	v_fma_f64 v[16:17], v[9:10], v[13:14], -v[16:17]
	v_fma_f64 v[22:23], -v[18:19], v[20:21], 0.5
	v_add_f64 v[16:17], v[16:17], s[18:19]
	s_mov_b32 s18, 0x2d4ff71e
	s_mov_b32 s19, 0xbfa019f7
	v_fma_f64 v[20:21], v[20:21], v[22:23], v[20:21]
	v_fma_f64 v[18:19], v[18:19], v[22:23], v[18:19]
	v_fma_f64 v[13:14], v[9:10], v[16:17], -v[13:14]
	v_fma_f64 v[22:23], -v[20:21], v[20:21], v[5:6]
	v_add_f64 v[13:14], v[13:14], s[18:19]
	s_mov_b32 s18, 0x9f4e6907
	s_mov_b32 s19, 0x400385bd
	v_fma_f64 v[20:21], v[22:23], v[18:19], v[20:21]
	v_fma_f64 v[9:10], v[9:10], v[13:14], -v[16:17]
	v_fma_f64 v[13:14], -v[20:21], v[20:21], v[5:6]
	v_add_f64 v[9:10], v[9:10], s[18:19]
	v_fma_f64 v[13:14], v[13:14], v[18:19], v[20:21]
	v_add_f64 v[9:10], v[9:10], -v[16:17]
	v_mov_b32_e32 v16, 0xffffff80
	v_mov_b32_e32 v17, 0x260
	v_cndmask_b32_e32 v16, 0, v16, vcc
	v_cmp_class_f64_e32 vcc, v[5:6], v17
	v_ldexp_f64 v[13:14], v[13:14], v16
	v_mul_f64 v[9:10], v[9:10], 0.5
	v_cndmask_b32_e32 v6, v14, v6, vcc
	v_cndmask_b32_e32 v5, v13, v5, vcc
	v_div_scale_f64 v[13:14], s[18:19], v[5:6], v[5:6], v[9:10]
	v_div_scale_f64 v[20:21], vcc, v[9:10], v[5:6], v[9:10]
	v_rcp_f64_e32 v[16:17], v[13:14]
	v_fma_f64 v[18:19], -v[13:14], v[16:17], 1.0
	v_fma_f64 v[16:17], v[16:17], v[18:19], v[16:17]
	v_fma_f64 v[18:19], -v[13:14], v[16:17], 1.0
	v_fma_f64 v[16:17], v[16:17], v[18:19], v[16:17]
	v_mul_f64 v[18:19], v[20:21], v[16:17]
	v_fma_f64 v[13:14], -v[13:14], v[18:19], v[20:21]
	v_div_fmas_f64 v[13:14], v[13:14], v[16:17], v[18:19]
	v_div_fixup_f64 v[9:10], v[13:14], v[5:6], v[9:10]
.LBB5_25:
	s_or_b64 exec, exec, s[4:5]
.LBB5_26:
	s_or_b64 exec, exec, s[16:17]
.LBB5_27:
	s_or_b64 exec, exec, s[14:15]
	v_cmp_neq_f64_e32 vcc, 0, v[7:8]
	s_mov_b64 s[14:15], 0
	s_and_saveexec_b64 s[16:17], vcc
	s_cbranch_execz .LBB5_35
; %bb.28:
	v_cmp_ngt_f64_e32 vcc, 0, v[7:8]
	v_mov_b32_e32 v11, 0
	v_mov_b32_e32 v12, 0x7ff80000
	s_and_saveexec_b64 s[18:19], vcc
	s_cbranch_execz .LBB5_34
; %bb.29:
	v_cmp_ge_f64_e32 vcc, 2.0, v[7:8]
	s_and_saveexec_b64 s[4:5], vcc
	s_xor_b64 s[20:21], exec, s[4:5]
	s_cbranch_execz .LBB5_31
; %bb.30:
	v_fma_f64 v[5:6], v[7:8], 0.5, -2.0
	v_mov_b32_e32 v11, 0x977da589
	v_mov_b32_e32 v12, 0x3c833362
	s_mov_b32 s5, 0xbc545cb7
	s_mov_b32 s4, 0x2134d0ef
	v_mul_f64 v[16:17], v[7:8], 0.5
	s_mov_b32 s22, 0x7a946abc
	s_mov_b32 s23, 0xbdb2fc95
	v_fma_f64 v[11:12], v[5:6], s[4:5], v[11:12]
	s_mov_b32 s5, 0x3c545cb7
	s_mov_b32 s40, 0x998ef7b6
	;; [unrolled: 1-line block ×4, first 2 shown]
	v_frexp_mant_f64_e32 v[18:19], v[16:17]
	s_mov_b32 s36, 0xe6a7fd77
	v_frexp_exp_i32_f64_e32 v38, v[16:17]
	v_fma_f64 v[13:14], v[5:6], v[11:12], s[4:5]
	s_mov_b32 s4, 0x721ebbb4
	s_mov_b32 s5, 0xbcb184eb
	;; [unrolled: 1-line block ×7, first 2 shown]
	v_add_f64 v[13:14], v[13:14], s[4:5]
	s_mov_b32 s4, 0x93f65eba
	s_mov_b32 s5, 0x3cdee6d8
	;; [unrolled: 1-line block ×7, first 2 shown]
	v_fma_f64 v[11:12], v[5:6], v[13:14], -v[11:12]
	s_mov_b32 s28, 0xfe8cfca0
	s_mov_b32 s29, 0x3ef7f900
	s_mov_b32 s26, 0x75633d73
	s_mov_b32 s27, 0x3f54b82e
	s_mov_b32 s24, 0x554a9085
	s_mov_b32 s25, 0x3fa26bf6
	v_add_f64 v[11:12], v[11:12], s[4:5]
	s_mov_b32 s4, 0xc297fbeb
	s_mov_b32 s5, 0xbd0a5022
	v_fma_f64 v[13:14], v[5:6], v[11:12], -v[13:14]
	v_add_f64 v[13:14], v[13:14], s[4:5]
	s_mov_b32 s4, 0x4b262627
	s_mov_b32 s5, 0x3d359b46
	v_fma_f64 v[11:12], v[5:6], v[13:14], -v[11:12]
	;; [unrolled: 4-line block ×4, first 2 shown]
	v_add_f64 v[11:12], v[11:12], s[4:5]
	s_mov_b32 s5, 0x3fe55555
	s_mov_b32 s4, 0x55555555
	v_cmp_gt_f64_e32 vcc, s[4:5], v[18:19]
	s_mov_b32 s4, 0x55555780
	v_fma_f64 v[13:14], v[5:6], v[11:12], -v[13:14]
	v_cndmask_b32_e64 v20, 0, 1, vcc
	v_ldexp_f64 v[18:19], v[18:19], v20
	v_subbrev_co_u32_e32 v38, vcc, 0, v38, vcc
	v_cvt_f64_i32_e32 v[38:39], v38
	v_add_f64 v[13:14], v[13:14], s[22:23]
	s_mov_b32 s22, 0xcc743c10
	s_mov_b32 s23, 0x3dda98be
	v_mul_f64 v[40:41], v[38:39], s[42:43]
	v_add_f64 v[20:21], v[18:19], 1.0
	v_add_f64 v[26:27], v[18:19], -1.0
	v_fma_f64 v[11:12], v[5:6], v[13:14], -v[11:12]
	v_rcp_f64_e32 v[22:23], v[20:21]
	v_add_f64 v[28:29], v[20:21], -1.0
	v_add_f64 v[11:12], v[11:12], s[22:23]
	s_mov_b32 s22, 0x13ae9556
	s_mov_b32 s23, 0xbe01d4fe
	v_add_f64 v[18:19], v[18:19], -v[28:29]
	v_fma_f64 v[13:14], v[5:6], v[11:12], -v[13:14]
	v_fma_f64 v[24:25], -v[20:21], v[22:23], 1.0
	v_add_f64 v[13:14], v[13:14], s[22:23]
	s_mov_b32 s22, 0xa454cb34
	s_mov_b32 s23, 0x3e26d903
	v_fma_f64 v[22:23], v[24:25], v[22:23], v[22:23]
	v_fma_f64 v[11:12], v[5:6], v[13:14], -v[11:12]
	v_fma_f64 v[24:25], -v[20:21], v[22:23], 1.0
	v_add_f64 v[11:12], v[11:12], s[22:23]
	s_mov_b32 s22, 0x8c0b30ab
	s_mov_b32 s23, 0xbe4beaf6
	v_fma_f64 v[22:23], v[24:25], v[22:23], v[22:23]
	v_fma_f64 v[13:14], v[5:6], v[11:12], -v[13:14]
	v_mul_f64 v[24:25], v[26:27], v[22:23]
	v_add_f64 v[13:14], v[13:14], s[22:23]
	s_mov_b32 s22, 0x9d4d6435
	s_mov_b32 s23, 0x3e703b76
	v_mul_f64 v[30:31], v[20:21], v[24:25]
	v_fma_f64 v[11:12], v[5:6], v[13:14], -v[11:12]
	v_fma_f64 v[20:21], v[24:25], v[20:21], -v[30:31]
	v_add_f64 v[11:12], v[11:12], s[22:23]
	s_mov_b32 s22, 0x8f227f8d
	s_mov_b32 s23, 0xbe91ec63
	v_fma_f64 v[18:19], v[24:25], v[18:19], v[20:21]
	v_fma_f64 v[13:14], v[5:6], v[11:12], -v[13:14]
	v_add_f64 v[20:21], v[30:31], v[18:19]
	v_add_f64 v[13:14], v[13:14], s[22:23]
	s_mov_b32 s22, 0x978cf4ac
	s_mov_b32 s23, 0x3eb2bf24
	v_add_f64 v[28:29], v[26:27], -v[20:21]
	v_add_f64 v[30:31], v[20:21], -v[30:31]
	v_fma_f64 v[11:12], v[5:6], v[13:14], -v[11:12]
	v_add_f64 v[26:27], v[26:27], -v[28:29]
	v_add_f64 v[18:19], v[30:31], -v[18:19]
	v_mov_b32_e32 v30, 0x6b47b09a
	v_mov_b32_e32 v31, 0x3fc38538
	v_add_f64 v[11:12], v[11:12], s[22:23]
	s_mov_b32 s22, 0xcba56427
	s_mov_b32 s23, 0xbed2866f
	v_add_f64 v[20:21], v[26:27], -v[20:21]
	v_fma_f64 v[13:14], v[5:6], v[11:12], -v[13:14]
	v_add_f64 v[18:19], v[18:19], v[20:21]
	v_fma_f64 v[20:21], v[7:8], v[7:8], -2.0
	v_add_f64 v[13:14], v[13:14], s[22:23]
	s_mov_b32 s22, 0xbe9a2859
	s_mov_b32 s23, 0x3ef13f58
	v_add_f64 v[18:19], v[28:29], v[18:19]
	v_fma_f64 v[11:12], v[5:6], v[13:14], -v[11:12]
	v_mul_f64 v[18:19], v[22:23], v[18:19]
	v_mov_b32_e32 v22, 0xc384c2aa
	v_mov_b32_e32 v23, 0x3d27fb0a
	v_fma_f64 v[22:23], v[20:21], s[36:37], v[22:23]
	v_add_f64 v[11:12], v[11:12], s[22:23]
	s_mov_b32 s22, 0x59c41d5a
	s_mov_b32 s23, 0xbf0e2b26
	;; [unrolled: 1-line block ×3, first 2 shown]
	v_add_f64 v[26:27], v[24:25], v[18:19]
	v_fma_f64 v[36:37], v[20:21], v[22:23], s[36:37]
	v_fma_f64 v[13:14], v[5:6], v[11:12], -v[13:14]
	s_mov_b32 s36, 0xf121b6f0
	s_mov_b32 s37, 0xbf984e9e
	v_mul_f64 v[28:29], v[26:27], v[26:27]
	v_ldexp_f64 v[34:35], v[26:27], 1
	v_add_f64 v[24:25], v[26:27], -v[24:25]
	v_add_f64 v[36:37], v[36:37], s[38:39]
	v_add_f64 v[13:14], v[13:14], s[22:23]
	s_mov_b32 s22, 0xbf559e2b
	s_mov_b32 s23, 0x3fc3ab76
	v_fma_f64 v[30:31], v[28:29], s[22:23], v[30:31]
	s_mov_b32 s22, 0x74107cab
	s_mov_b32 s23, 0x3f28b51b
	v_mul_f64 v[32:33], v[26:27], v[28:29]
	v_fma_f64 v[11:12], v[5:6], v[13:14], -v[11:12]
	v_add_f64 v[18:19], v[18:19], -v[24:25]
	v_fma_f64 v[22:23], v[20:21], v[36:37], -v[22:23]
	v_add_f64 v[11:12], v[11:12], s[22:23]
	s_mov_b32 s22, 0xd7f4df2e
	s_mov_b32 s23, 0x3fc7474d
	v_fma_f64 v[30:31], v[28:29], v[30:31], s[22:23]
	s_mov_b32 s22, 0x16291751
	s_mov_b32 s23, 0x3fcc71c0
	v_ldexp_f64 v[18:19], v[18:19], 1
	v_add_f64 v[22:23], v[22:23], s[34:35]
	v_fma_f64 v[13:14], v[5:6], v[11:12], -v[13:14]
	s_mov_b32 s34, 0x623fde64
	s_mov_b32 s35, 0x3ec71dee
	v_fma_f64 v[30:31], v[28:29], v[30:31], s[22:23]
	s_mov_b32 s22, 0x1f15eb52
	s_mov_b32 s23, 0xbf42e2fd
	v_fma_f64 v[36:37], v[20:21], v[22:23], -v[36:37]
	v_add_f64 v[13:14], v[13:14], s[22:23]
	s_mov_b32 s22, 0x9b27acf1
	s_mov_b32 s23, 0x3fd24924
	v_fma_f64 v[30:31], v[28:29], v[30:31], s[22:23]
	s_mov_b32 s22, 0x81213db9
	s_mov_b32 s23, 0x3fd608d8
	v_add_f64 v[36:37], v[36:37], s[30:31]
	v_fma_f64 v[11:12], v[5:6], v[13:14], -v[11:12]
	s_mov_b32 s30, 0x14761f6e
	s_mov_b32 s31, 0x3f2a01a0
	v_fma_f64 v[30:31], v[28:29], v[30:31], s[40:41]
	s_mov_b32 s40, 0x8a12100e
	s_mov_b32 s41, 0x3f5adc75
	v_fma_f64 v[22:23], v[20:21], v[36:37], -v[22:23]
	v_add_f64 v[11:12], v[11:12], s[40:41]
	s_mov_b32 s40, 0x652b82fe
	s_mov_b32 s41, 0x3ff71547
	v_fma_f64 v[28:29], v[28:29], v[30:31], s[4:5]
	s_mov_b32 s4, 0x201aa849
	s_mov_b32 s5, 0xbf71b65e
	v_mov_b32_e32 v30, 0xfca7ab0c
	v_mov_b32_e32 v31, 0x3e928af3
	v_fma_f64 v[13:14], v[5:6], v[11:12], -v[13:14]
	v_add_f64 v[22:23], v[22:23], s[28:29]
	s_mov_b32 s28, 0x77ac88c0
	v_mul_f64 v[28:29], v[32:33], v[28:29]
	v_mul_f64 v[32:33], v[7:8], s[40:41]
	s_mov_b32 s29, 0x3fc5f7ac
	v_add_f64 v[13:14], v[13:14], s[4:5]
	s_mov_b32 s4, 0xf3dde3dd
	s_mov_b32 s5, 0x3f859961
	v_add_f64 v[26:27], v[34:35], v[28:29]
	v_rndne_f64_e32 v[32:33], v[32:33]
	v_fma_f64 v[11:12], v[5:6], v[13:14], -v[11:12]
	v_add_f64 v[24:25], v[26:27], -v[34:35]
	v_fma_f64 v[34:35], v[38:39], s[42:43], -v[40:41]
	s_mov_b32 s43, 0xbfe62e42
	v_fma_f64 v[7:8], v[32:33], s[42:43], v[7:8]
	v_add_f64 v[11:12], v[11:12], s[4:5]
	s_mov_b32 s4, 0x6a5dcb37
	s_mov_b32 s5, 0x3e5ade15
	v_add_f64 v[24:25], v[28:29], -v[24:25]
	v_fma_f64 v[28:29], v[38:39], s[44:45], v[34:35]
	s_mov_b32 s45, 0xbc7abc9e
	v_fma_f64 v[7:8], v[32:33], s[44:45], v[7:8]
	v_fma_f64 v[13:14], v[5:6], v[11:12], -v[13:14]
	v_add_f64 v[18:19], v[18:19], v[24:25]
	v_add_f64 v[24:25], v[40:41], v[28:29]
	v_fma_f64 v[30:31], v[7:8], s[4:5], v[30:31]
	s_mov_b32 s4, 0x7c89e6b0
	v_add_f64 v[13:14], v[13:14], s[36:37]
	s_mov_b32 s36, 0xcea8a32d
	s_mov_b32 s37, 0x3fa93e8a
	v_add_f64 v[34:35], v[26:27], v[18:19]
	s_mov_b32 s5, 0x3efa0199
	v_add_f64 v[40:41], v[24:25], -v[40:41]
	v_fma_f64 v[30:31], v[7:8], v[30:31], s[34:35]
	s_mov_b32 s34, 0x1852b7b0
	v_fma_f64 v[11:12], v[5:6], v[13:14], -v[11:12]
	s_mov_b32 s35, 0x3f56c16c
	v_add_f64 v[38:39], v[24:25], v[34:35]
	v_add_f64 v[26:27], v[34:35], -v[26:27]
	v_add_f64 v[28:29], v[28:29], -v[40:41]
	v_fma_f64 v[30:31], v[7:8], v[30:31], s[4:5]
	s_mov_b32 s4, 0x342d06ea
	v_add_f64 v[11:12], v[11:12], s[36:37]
	s_mov_b32 s5, 0xbfb84b70
	v_add_f64 v[42:43], v[38:39], -v[24:25]
	v_add_f64 v[18:19], v[18:19], -v[26:27]
	v_fma_f64 v[30:31], v[7:8], v[30:31], s[30:31]
	v_fma_f64 v[13:14], v[5:6], v[11:12], -v[13:14]
	v_add_f64 v[44:45], v[38:39], -v[42:43]
	v_add_f64 v[26:27], v[34:35], -v[42:43]
	v_fma_f64 v[34:35], v[20:21], v[22:23], -v[36:37]
	v_fma_f64 v[30:31], v[7:8], v[30:31], s[34:35]
	v_add_f64 v[36:37], v[28:29], v[18:19]
	v_add_f64 v[13:14], v[13:14], s[4:5]
	s_mov_b32 s4, 0x11122322
	s_mov_b32 s5, 0x3f811111
	v_add_f64 v[24:25], v[24:25], -v[44:45]
	v_fma_f64 v[30:31], v[7:8], v[30:31], s[4:5]
	s_mov_b32 s4, 0x555502a1
	v_fma_f64 v[11:12], v[5:6], v[13:14], -v[11:12]
	s_mov_b32 s5, 0x3fa55555
	v_add_f64 v[24:25], v[26:27], v[24:25]
	v_add_f64 v[26:27], v[34:35], s[26:27]
	v_add_f64 v[34:35], v[36:37], -v[28:29]
	v_fma_f64 v[30:31], v[7:8], v[30:31], s[4:5]
	s_mov_b32 s26, 0x55555511
	v_add_f64 v[11:12], v[11:12], s[28:29]
	s_mov_b32 s4, 0xc057cd8d
	s_mov_b32 s27, 0x3fc55555
	v_add_f64 v[24:25], v[36:37], v[24:25]
	v_fma_f64 v[22:23], v[20:21], v[26:27], -v[22:23]
	s_mov_b32 s5, 0xbfd37feb
	v_add_f64 v[36:37], v[36:37], -v[34:35]
	v_fma_f64 v[30:31], v[7:8], v[30:31], s[26:27]
	v_fma_f64 v[13:14], v[5:6], v[11:12], -v[13:14]
	v_add_f64 v[18:19], v[18:19], -v[34:35]
	v_add_f64 v[40:41], v[38:39], v[24:25]
	v_add_f64 v[22:23], v[22:23], s[24:25]
	v_add_f64 v[28:29], v[28:29], -v[36:37]
	v_add_f64 v[13:14], v[13:14], s[4:5]
	s_mov_b32 s4, 11
	s_mov_b32 s5, 0x3fe00000
	v_add_f64 v[34:35], v[40:41], -v[38:39]
	v_fma_f64 v[26:27], v[20:21], v[22:23], -v[26:27]
	v_fma_f64 v[30:31], v[7:8], v[30:31], s[4:5]
	s_mov_b32 s4, 0x9035a22a
	s_mov_b32 s5, 0x3fe5a84e
	v_fma_f64 v[5:6], v[5:6], v[13:14], -v[11:12]
	v_add_f64 v[13:14], v[18:19], v[28:29]
	v_add_f64 v[18:19], v[24:25], -v[34:35]
	v_add_f64 v[24:25], v[26:27], s[22:23]
	v_fma_f64 v[26:27], v[7:8], v[30:31], 1.0
	v_add_f64 v[5:6], v[5:6], s[4:5]
	s_mov_b32 s4, 0xe9d2f61f
	s_mov_b32 s5, 0xbfe12166
	v_add_f64 v[13:14], v[13:14], v[18:19]
	v_fma_f64 v[18:19], v[20:21], v[24:25], -v[22:23]
	v_fma_f64 v[7:8], v[7:8], v[26:27], 1.0
	v_cvt_i32_f64_e32 v20, v[32:33]
	v_add_f64 v[5:6], v[5:6], -v[11:12]
	v_add_f64 v[11:12], v[40:41], v[13:14]
	v_add_f64 v[13:14], v[18:19], s[4:5]
	v_ldexp_f64 v[7:8], v[7:8], v20
	s_mov_b32 s4, 0
	s_mov_b32 s5, 0x7ff00000
	v_mul_f64 v[5:6], v[5:6], 0.5
	v_cmp_neq_f64_e32 vcc, s[4:5], v[16:17]
	v_cmp_neq_f64_e64 s[4:5], 0, v[16:17]
	v_mov_b32_e32 v18, 0x7ff00000
	v_mov_b32_e32 v19, 0xfff00000
	v_mul_f64 v[5:6], v[7:8], v[5:6]
	v_cndmask_b32_e32 v18, v18, v12, vcc
	s_and_b64 vcc, s[4:5], vcc
	v_cndmask_b32_e64 v17, v19, v18, s[4:5]
	v_cndmask_b32_e32 v16, 0, v11, vcc
	v_add_f64 v[12:13], v[13:14], -v[22:23]
	v_mul_f64 v[5:6], v[16:17], v[5:6]
	v_fma_f64 v[5:6], v[12:13], 0.5, -v[5:6]
	v_mul_f64 v[11:12], v[7:8], v[5:6]
                                        ; implicit-def: $vgpr7_vgpr8
.LBB5_31:
	s_andn2_saveexec_b64 s[4:5], s[20:21]
	s_cbranch_execz .LBB5_33
; %bb.32:
	s_mov_b32 s20, 0
	s_mov_b32 s21, 0x40200000
	v_div_scale_f64 v[5:6], s[22:23], v[7:8], v[7:8], s[20:21]
	v_rcp_f64_e32 v[11:12], v[5:6]
	v_fma_f64 v[13:14], -v[5:6], v[11:12], 1.0
	v_fma_f64 v[11:12], v[11:12], v[13:14], v[11:12]
	v_div_scale_f64 v[13:14], vcc, s[20:21], v[7:8], s[20:21]
	v_fma_f64 v[16:17], -v[5:6], v[11:12], 1.0
	v_fma_f64 v[11:12], v[11:12], v[16:17], v[11:12]
	v_mul_f64 v[16:17], v[13:14], v[11:12]
	v_fma_f64 v[5:6], -v[5:6], v[16:17], v[13:14]
	v_div_fmas_f64 v[5:6], v[5:6], v[11:12], v[16:17]
	v_mov_b32_e32 v11, 0x93812603
	v_mov_b32_e32 v12, 0xbc72fecc
	;; [unrolled: 1-line block ×3, first 2 shown]
	v_div_fixup_f64 v[5:6], v[5:6], v[7:8], s[20:21]
	s_mov_b32 s21, 0x3c5871a5
	s_mov_b32 s20, 0xcf8c9ee1
	v_add_f64 v[5:6], v[5:6], -2.0
	v_fma_f64 v[11:12], v[5:6], s[20:21], v[11:12]
	s_mov_b32 s21, 0xbc5871a5
	v_fma_f64 v[13:14], v[5:6], v[11:12], s[20:21]
	s_mov_b32 s20, 0x41a8cdf4
	s_mov_b32 s21, 0x3c8e092e
	v_add_f64 v[13:14], v[13:14], s[20:21]
	s_mov_b32 s20, 0x74d77641
	s_mov_b32 s21, 0xbca82f94
	v_fma_f64 v[11:12], v[5:6], v[13:14], -v[11:12]
	v_add_f64 v[11:12], v[11:12], s[20:21]
	s_mov_b32 s20, 0x6b94785b
	s_mov_b32 s21, 0x3cc3dbf9
	v_fma_f64 v[13:14], v[5:6], v[11:12], -v[13:14]
	;; [unrolled: 4-line block ×17, first 2 shown]
	v_add_f64 v[11:12], v[11:12], s[20:21]
	s_mov_b32 s20, 0
	s_brev_b32 s21, 8
	v_cmp_gt_f64_e32 vcc, s[20:21], v[7:8]
	s_mov_b32 s20, 0xcc7470a9
	s_mov_b32 s21, 0x3eed413f
	v_fma_f64 v[13:14], v[5:6], v[11:12], -v[13:14]
	v_cndmask_b32_e32 v16, 0, v16, vcc
	v_ldexp_f64 v[7:8], v[7:8], v16
	v_add_f64 v[13:14], v[13:14], s[20:21]
	s_mov_b32 s20, 0xe7889f42
	s_mov_b32 s21, 0xbf20d797
	v_rsq_f64_e32 v[16:17], v[7:8]
	v_fma_f64 v[11:12], v[5:6], v[13:14], -v[11:12]
	v_add_f64 v[11:12], v[11:12], s[20:21]
	s_mov_b32 s20, 0xfca79342
	s_mov_b32 s21, 0x3f59b891
	v_mul_f64 v[18:19], v[7:8], v[16:17]
	v_mul_f64 v[16:17], v[16:17], 0.5
	v_fma_f64 v[13:14], v[5:6], v[11:12], -v[13:14]
	v_fma_f64 v[20:21], -v[16:17], v[18:19], 0.5
	v_add_f64 v[13:14], v[13:14], s[20:21]
	s_mov_b32 s20, 0x2d4ff71e
	s_mov_b32 s21, 0xbfa019f7
	v_fma_f64 v[18:19], v[18:19], v[20:21], v[18:19]
	v_fma_f64 v[16:17], v[16:17], v[20:21], v[16:17]
	v_fma_f64 v[11:12], v[5:6], v[13:14], -v[11:12]
	v_fma_f64 v[20:21], -v[18:19], v[18:19], v[7:8]
	v_add_f64 v[11:12], v[11:12], s[20:21]
	s_mov_b32 s20, 0x9f4e6907
	s_mov_b32 s21, 0x400385bd
	v_fma_f64 v[18:19], v[20:21], v[16:17], v[18:19]
	v_fma_f64 v[5:6], v[5:6], v[11:12], -v[13:14]
	v_fma_f64 v[11:12], -v[18:19], v[18:19], v[7:8]
	v_add_f64 v[5:6], v[5:6], s[20:21]
	v_fma_f64 v[11:12], v[11:12], v[16:17], v[18:19]
	v_add_f64 v[5:6], v[5:6], -v[13:14]
	v_mov_b32_e32 v13, 0xffffff80
	v_mov_b32_e32 v14, 0x260
	v_cndmask_b32_e32 v13, 0, v13, vcc
	v_cmp_class_f64_e32 vcc, v[7:8], v14
	v_ldexp_f64 v[11:12], v[11:12], v13
	v_mul_f64 v[5:6], v[5:6], 0.5
	v_cndmask_b32_e32 v8, v12, v8, vcc
	v_cndmask_b32_e32 v7, v11, v7, vcc
	v_div_scale_f64 v[11:12], s[20:21], v[7:8], v[7:8], v[5:6]
	v_div_scale_f64 v[18:19], vcc, v[5:6], v[7:8], v[5:6]
	v_rcp_f64_e32 v[13:14], v[11:12]
	v_fma_f64 v[16:17], -v[11:12], v[13:14], 1.0
	v_fma_f64 v[13:14], v[13:14], v[16:17], v[13:14]
	v_fma_f64 v[16:17], -v[11:12], v[13:14], 1.0
	v_fma_f64 v[13:14], v[13:14], v[16:17], v[13:14]
	v_mul_f64 v[16:17], v[18:19], v[13:14]
	v_fma_f64 v[11:12], -v[11:12], v[16:17], v[18:19]
	v_div_fmas_f64 v[11:12], v[11:12], v[13:14], v[16:17]
	v_div_fixup_f64 v[11:12], v[11:12], v[7:8], v[5:6]
.LBB5_33:
	s_or_b64 exec, exec, s[4:5]
.LBB5_34:
	s_or_b64 exec, exec, s[18:19]
.LBB5_35:
	s_or_b64 exec, exec, s[16:17]
	s_add_u32 s4, s8, s12
	s_addc_u32 s5, s9, s13
	v_mov_b32_e32 v5, s5
	v_add_co_u32_e32 v6, vcc, s4, v15
	v_addc_co_u32_e32 v5, vcc, 0, v5, vcc
	global_store_dwordx4 v15, v[1:4], s[4:5]
	s_nop 0
	v_add_co_u32_e32 v1, vcc, 0x1000, v6
	v_addc_co_u32_e32 v2, vcc, 0, v5, vcc
	global_store_dwordx4 v[1:2], v[9:12], off
	s_and_b64 vcc, exec, s[14:15]
	s_cbranch_vccz .LBB5_2
.LBB5_36:
	s_getpc_b64 s[4:5]
	s_add_u32 s4, s4, _ZN2at6native25elementwise_kernel_helperILb0EZZZNS0_12_GLOBAL__N_137scaled_modified_bessel_k0_kernel_cudaERNS_18TensorIteratorBaseEENKUlvE_clEvENKUlvE_clEvEUldE_NS0_6memory8policies11unroll_baseILi256ESt5arrayIPcLm2EE23TrivialOffsetCalculatorILi1EjESF_NS8_15LoadWithoutCastENS8_16StoreWithoutCastELi4ELi1EEEEEvT0_T1_@rel32@lo+4
	s_addc_u32 s5, s5, _ZN2at6native25elementwise_kernel_helperILb0EZZZNS0_12_GLOBAL__N_137scaled_modified_bessel_k0_kernel_cudaERNS_18TensorIteratorBaseEENKUlvE_clEvENKUlvE_clEvEUldE_NS0_6memory8policies11unroll_baseILi256ESt5arrayIPcLm2EE23TrivialOffsetCalculatorILi1EjESF_NS8_15LoadWithoutCastENS8_16StoreWithoutCastELi4ELi1EEEEEvT0_T1_@rel32@hi+12
	s_mov_b32 s12, s6
	v_mov_b32_e32 v31, v0
	v_mov_b32_e32 v0, s8
	;; [unrolled: 1-line block ×6, first 2 shown]
	s_swappc_b64 s[30:31], s[4:5]
	s_endpgm
	.section	.rodata,"a",@progbits
	.p2align	6, 0x0
	.amdhsa_kernel _ZN2at6native29vectorized_elementwise_kernelILi2EZZZNS0_12_GLOBAL__N_137scaled_modified_bessel_k0_kernel_cudaERNS_18TensorIteratorBaseEENKUlvE_clEvENKUlvE_clEvEUldE_St5arrayIPcLm2EEEEviT0_T1_
		.amdhsa_group_segment_fixed_size 0
		.amdhsa_private_segment_fixed_size 0
		.amdhsa_kernarg_size 24
		.amdhsa_user_sgpr_count 6
		.amdhsa_user_sgpr_private_segment_buffer 1
		.amdhsa_user_sgpr_dispatch_ptr 0
		.amdhsa_user_sgpr_queue_ptr 0
		.amdhsa_user_sgpr_kernarg_segment_ptr 1
		.amdhsa_user_sgpr_dispatch_id 0
		.amdhsa_user_sgpr_flat_scratch_init 0
		.amdhsa_user_sgpr_private_segment_size 0
		.amdhsa_uses_dynamic_stack 0
		.amdhsa_system_sgpr_private_segment_wavefront_offset 0
		.amdhsa_system_sgpr_workgroup_id_x 1
		.amdhsa_system_sgpr_workgroup_id_y 0
		.amdhsa_system_sgpr_workgroup_id_z 0
		.amdhsa_system_sgpr_workgroup_info 0
		.amdhsa_system_vgpr_workitem_id 0
		.amdhsa_next_free_vgpr 48
		.amdhsa_next_free_sgpr 46
		.amdhsa_reserve_vcc 1
		.amdhsa_reserve_flat_scratch 0
		.amdhsa_float_round_mode_32 0
		.amdhsa_float_round_mode_16_64 0
		.amdhsa_float_denorm_mode_32 3
		.amdhsa_float_denorm_mode_16_64 3
		.amdhsa_dx10_clamp 1
		.amdhsa_ieee_mode 1
		.amdhsa_fp16_overflow 0
		.amdhsa_exception_fp_ieee_invalid_op 0
		.amdhsa_exception_fp_denorm_src 0
		.amdhsa_exception_fp_ieee_div_zero 0
		.amdhsa_exception_fp_ieee_overflow 0
		.amdhsa_exception_fp_ieee_underflow 0
		.amdhsa_exception_fp_ieee_inexact 0
		.amdhsa_exception_int_div_zero 0
	.end_amdhsa_kernel
	.section	.text._ZN2at6native29vectorized_elementwise_kernelILi2EZZZNS0_12_GLOBAL__N_137scaled_modified_bessel_k0_kernel_cudaERNS_18TensorIteratorBaseEENKUlvE_clEvENKUlvE_clEvEUldE_St5arrayIPcLm2EEEEviT0_T1_,"axG",@progbits,_ZN2at6native29vectorized_elementwise_kernelILi2EZZZNS0_12_GLOBAL__N_137scaled_modified_bessel_k0_kernel_cudaERNS_18TensorIteratorBaseEENKUlvE_clEvENKUlvE_clEvEUldE_St5arrayIPcLm2EEEEviT0_T1_,comdat
.Lfunc_end5:
	.size	_ZN2at6native29vectorized_elementwise_kernelILi2EZZZNS0_12_GLOBAL__N_137scaled_modified_bessel_k0_kernel_cudaERNS_18TensorIteratorBaseEENKUlvE_clEvENKUlvE_clEvEUldE_St5arrayIPcLm2EEEEviT0_T1_, .Lfunc_end5-_ZN2at6native29vectorized_elementwise_kernelILi2EZZZNS0_12_GLOBAL__N_137scaled_modified_bessel_k0_kernel_cudaERNS_18TensorIteratorBaseEENKUlvE_clEvENKUlvE_clEvEUldE_St5arrayIPcLm2EEEEviT0_T1_
                                        ; -- End function
	.set _ZN2at6native29vectorized_elementwise_kernelILi2EZZZNS0_12_GLOBAL__N_137scaled_modified_bessel_k0_kernel_cudaERNS_18TensorIteratorBaseEENKUlvE_clEvENKUlvE_clEvEUldE_St5arrayIPcLm2EEEEviT0_T1_.num_vgpr, max(48, .L_ZN2at6native25elementwise_kernel_helperILb0EZZZNS0_12_GLOBAL__N_137scaled_modified_bessel_k0_kernel_cudaERNS_18TensorIteratorBaseEENKUlvE_clEvENKUlvE_clEvEUldE_NS0_6memory8policies11unroll_baseILi256ESt5arrayIPcLm2EE23TrivialOffsetCalculatorILi1EjESF_NS8_15LoadWithoutCastENS8_16StoreWithoutCastELi4ELi1EEEEEvT0_T1_.num_vgpr)
	.set _ZN2at6native29vectorized_elementwise_kernelILi2EZZZNS0_12_GLOBAL__N_137scaled_modified_bessel_k0_kernel_cudaERNS_18TensorIteratorBaseEENKUlvE_clEvENKUlvE_clEvEUldE_St5arrayIPcLm2EEEEviT0_T1_.num_agpr, max(0, .L_ZN2at6native25elementwise_kernel_helperILb0EZZZNS0_12_GLOBAL__N_137scaled_modified_bessel_k0_kernel_cudaERNS_18TensorIteratorBaseEENKUlvE_clEvENKUlvE_clEvEUldE_NS0_6memory8policies11unroll_baseILi256ESt5arrayIPcLm2EE23TrivialOffsetCalculatorILi1EjESF_NS8_15LoadWithoutCastENS8_16StoreWithoutCastELi4ELi1EEEEEvT0_T1_.num_agpr)
	.set _ZN2at6native29vectorized_elementwise_kernelILi2EZZZNS0_12_GLOBAL__N_137scaled_modified_bessel_k0_kernel_cudaERNS_18TensorIteratorBaseEENKUlvE_clEvENKUlvE_clEvEUldE_St5arrayIPcLm2EEEEviT0_T1_.numbered_sgpr, max(46, .L_ZN2at6native25elementwise_kernel_helperILb0EZZZNS0_12_GLOBAL__N_137scaled_modified_bessel_k0_kernel_cudaERNS_18TensorIteratorBaseEENKUlvE_clEvENKUlvE_clEvEUldE_NS0_6memory8policies11unroll_baseILi256ESt5arrayIPcLm2EE23TrivialOffsetCalculatorILi1EjESF_NS8_15LoadWithoutCastENS8_16StoreWithoutCastELi4ELi1EEEEEvT0_T1_.numbered_sgpr)
	.set _ZN2at6native29vectorized_elementwise_kernelILi2EZZZNS0_12_GLOBAL__N_137scaled_modified_bessel_k0_kernel_cudaERNS_18TensorIteratorBaseEENKUlvE_clEvENKUlvE_clEvEUldE_St5arrayIPcLm2EEEEviT0_T1_.num_named_barrier, max(0, .L_ZN2at6native25elementwise_kernel_helperILb0EZZZNS0_12_GLOBAL__N_137scaled_modified_bessel_k0_kernel_cudaERNS_18TensorIteratorBaseEENKUlvE_clEvENKUlvE_clEvEUldE_NS0_6memory8policies11unroll_baseILi256ESt5arrayIPcLm2EE23TrivialOffsetCalculatorILi1EjESF_NS8_15LoadWithoutCastENS8_16StoreWithoutCastELi4ELi1EEEEEvT0_T1_.num_named_barrier)
	.set _ZN2at6native29vectorized_elementwise_kernelILi2EZZZNS0_12_GLOBAL__N_137scaled_modified_bessel_k0_kernel_cudaERNS_18TensorIteratorBaseEENKUlvE_clEvENKUlvE_clEvEUldE_St5arrayIPcLm2EEEEviT0_T1_.private_seg_size, 0+max(.L_ZN2at6native25elementwise_kernel_helperILb0EZZZNS0_12_GLOBAL__N_137scaled_modified_bessel_k0_kernel_cudaERNS_18TensorIteratorBaseEENKUlvE_clEvENKUlvE_clEvEUldE_NS0_6memory8policies11unroll_baseILi256ESt5arrayIPcLm2EE23TrivialOffsetCalculatorILi1EjESF_NS8_15LoadWithoutCastENS8_16StoreWithoutCastELi4ELi1EEEEEvT0_T1_.private_seg_size)
	.set _ZN2at6native29vectorized_elementwise_kernelILi2EZZZNS0_12_GLOBAL__N_137scaled_modified_bessel_k0_kernel_cudaERNS_18TensorIteratorBaseEENKUlvE_clEvENKUlvE_clEvEUldE_St5arrayIPcLm2EEEEviT0_T1_.uses_vcc, or(1, .L_ZN2at6native25elementwise_kernel_helperILb0EZZZNS0_12_GLOBAL__N_137scaled_modified_bessel_k0_kernel_cudaERNS_18TensorIteratorBaseEENKUlvE_clEvENKUlvE_clEvEUldE_NS0_6memory8policies11unroll_baseILi256ESt5arrayIPcLm2EE23TrivialOffsetCalculatorILi1EjESF_NS8_15LoadWithoutCastENS8_16StoreWithoutCastELi4ELi1EEEEEvT0_T1_.uses_vcc)
	.set _ZN2at6native29vectorized_elementwise_kernelILi2EZZZNS0_12_GLOBAL__N_137scaled_modified_bessel_k0_kernel_cudaERNS_18TensorIteratorBaseEENKUlvE_clEvENKUlvE_clEvEUldE_St5arrayIPcLm2EEEEviT0_T1_.uses_flat_scratch, or(0, .L_ZN2at6native25elementwise_kernel_helperILb0EZZZNS0_12_GLOBAL__N_137scaled_modified_bessel_k0_kernel_cudaERNS_18TensorIteratorBaseEENKUlvE_clEvENKUlvE_clEvEUldE_NS0_6memory8policies11unroll_baseILi256ESt5arrayIPcLm2EE23TrivialOffsetCalculatorILi1EjESF_NS8_15LoadWithoutCastENS8_16StoreWithoutCastELi4ELi1EEEEEvT0_T1_.uses_flat_scratch)
	.set _ZN2at6native29vectorized_elementwise_kernelILi2EZZZNS0_12_GLOBAL__N_137scaled_modified_bessel_k0_kernel_cudaERNS_18TensorIteratorBaseEENKUlvE_clEvENKUlvE_clEvEUldE_St5arrayIPcLm2EEEEviT0_T1_.has_dyn_sized_stack, or(0, .L_ZN2at6native25elementwise_kernel_helperILb0EZZZNS0_12_GLOBAL__N_137scaled_modified_bessel_k0_kernel_cudaERNS_18TensorIteratorBaseEENKUlvE_clEvENKUlvE_clEvEUldE_NS0_6memory8policies11unroll_baseILi256ESt5arrayIPcLm2EE23TrivialOffsetCalculatorILi1EjESF_NS8_15LoadWithoutCastENS8_16StoreWithoutCastELi4ELi1EEEEEvT0_T1_.has_dyn_sized_stack)
	.set _ZN2at6native29vectorized_elementwise_kernelILi2EZZZNS0_12_GLOBAL__N_137scaled_modified_bessel_k0_kernel_cudaERNS_18TensorIteratorBaseEENKUlvE_clEvENKUlvE_clEvEUldE_St5arrayIPcLm2EEEEviT0_T1_.has_recursion, or(0, .L_ZN2at6native25elementwise_kernel_helperILb0EZZZNS0_12_GLOBAL__N_137scaled_modified_bessel_k0_kernel_cudaERNS_18TensorIteratorBaseEENKUlvE_clEvENKUlvE_clEvEUldE_NS0_6memory8policies11unroll_baseILi256ESt5arrayIPcLm2EE23TrivialOffsetCalculatorILi1EjESF_NS8_15LoadWithoutCastENS8_16StoreWithoutCastELi4ELi1EEEEEvT0_T1_.has_recursion)
	.set _ZN2at6native29vectorized_elementwise_kernelILi2EZZZNS0_12_GLOBAL__N_137scaled_modified_bessel_k0_kernel_cudaERNS_18TensorIteratorBaseEENKUlvE_clEvENKUlvE_clEvEUldE_St5arrayIPcLm2EEEEviT0_T1_.has_indirect_call, or(0, .L_ZN2at6native25elementwise_kernel_helperILb0EZZZNS0_12_GLOBAL__N_137scaled_modified_bessel_k0_kernel_cudaERNS_18TensorIteratorBaseEENKUlvE_clEvENKUlvE_clEvEUldE_NS0_6memory8policies11unroll_baseILi256ESt5arrayIPcLm2EE23TrivialOffsetCalculatorILi1EjESF_NS8_15LoadWithoutCastENS8_16StoreWithoutCastELi4ELi1EEEEEvT0_T1_.has_indirect_call)
	.section	.AMDGPU.csdata,"",@progbits
; Kernel info:
; codeLenInByte = 14828
; TotalNumSgprs: 50
; NumVgprs: 48
; ScratchSize: 0
; MemoryBound: 0
; FloatMode: 240
; IeeeMode: 1
; LDSByteSize: 0 bytes/workgroup (compile time only)
; SGPRBlocks: 6
; VGPRBlocks: 11
; NumSGPRsForWavesPerEU: 50
; NumVGPRsForWavesPerEU: 48
; Occupancy: 5
; WaveLimiterHint : 1
; COMPUTE_PGM_RSRC2:SCRATCH_EN: 0
; COMPUTE_PGM_RSRC2:USER_SGPR: 6
; COMPUTE_PGM_RSRC2:TRAP_HANDLER: 0
; COMPUTE_PGM_RSRC2:TGID_X_EN: 1
; COMPUTE_PGM_RSRC2:TGID_Y_EN: 0
; COMPUTE_PGM_RSRC2:TGID_Z_EN: 0
; COMPUTE_PGM_RSRC2:TIDIG_COMP_CNT: 0
	.section	.text._ZN2at6native27unrolled_elementwise_kernelIZZZNS0_12_GLOBAL__N_137scaled_modified_bessel_k0_kernel_cudaERNS_18TensorIteratorBaseEENKUlvE_clEvENKUlvE_clEvEUldE_St5arrayIPcLm2EELi4E23TrivialOffsetCalculatorILi1EjESC_NS0_6memory15LoadWithoutCastENSD_16StoreWithoutCastEEEviT_T0_T2_T3_T4_T5_,"axG",@progbits,_ZN2at6native27unrolled_elementwise_kernelIZZZNS0_12_GLOBAL__N_137scaled_modified_bessel_k0_kernel_cudaERNS_18TensorIteratorBaseEENKUlvE_clEvENKUlvE_clEvEUldE_St5arrayIPcLm2EELi4E23TrivialOffsetCalculatorILi1EjESC_NS0_6memory15LoadWithoutCastENSD_16StoreWithoutCastEEEviT_T0_T2_T3_T4_T5_,comdat
	.globl	_ZN2at6native27unrolled_elementwise_kernelIZZZNS0_12_GLOBAL__N_137scaled_modified_bessel_k0_kernel_cudaERNS_18TensorIteratorBaseEENKUlvE_clEvENKUlvE_clEvEUldE_St5arrayIPcLm2EELi4E23TrivialOffsetCalculatorILi1EjESC_NS0_6memory15LoadWithoutCastENSD_16StoreWithoutCastEEEviT_T0_T2_T3_T4_T5_ ; -- Begin function _ZN2at6native27unrolled_elementwise_kernelIZZZNS0_12_GLOBAL__N_137scaled_modified_bessel_k0_kernel_cudaERNS_18TensorIteratorBaseEENKUlvE_clEvENKUlvE_clEvEUldE_St5arrayIPcLm2EELi4E23TrivialOffsetCalculatorILi1EjESC_NS0_6memory15LoadWithoutCastENSD_16StoreWithoutCastEEEviT_T0_T2_T3_T4_T5_
	.p2align	8
	.type	_ZN2at6native27unrolled_elementwise_kernelIZZZNS0_12_GLOBAL__N_137scaled_modified_bessel_k0_kernel_cudaERNS_18TensorIteratorBaseEENKUlvE_clEvENKUlvE_clEvEUldE_St5arrayIPcLm2EELi4E23TrivialOffsetCalculatorILi1EjESC_NS0_6memory15LoadWithoutCastENSD_16StoreWithoutCastEEEviT_T0_T2_T3_T4_T5_,@function
_ZN2at6native27unrolled_elementwise_kernelIZZZNS0_12_GLOBAL__N_137scaled_modified_bessel_k0_kernel_cudaERNS_18TensorIteratorBaseEENKUlvE_clEvENKUlvE_clEvEUldE_St5arrayIPcLm2EELi4E23TrivialOffsetCalculatorILi1EjESC_NS0_6memory15LoadWithoutCastENSD_16StoreWithoutCastEEEviT_T0_T2_T3_T4_T5_: ; @_ZN2at6native27unrolled_elementwise_kernelIZZZNS0_12_GLOBAL__N_137scaled_modified_bessel_k0_kernel_cudaERNS_18TensorIteratorBaseEENKUlvE_clEvENKUlvE_clEvEUldE_St5arrayIPcLm2EELi4E23TrivialOffsetCalculatorILi1EjESC_NS0_6memory15LoadWithoutCastENSD_16StoreWithoutCastEEEviT_T0_T2_T3_T4_T5_
; %bb.0:
	s_add_u32 s0, s0, s7
	s_load_dword s7, s[4:5], 0x0
	s_load_dwordx4 s[8:11], s[4:5], 0x8
	s_addc_u32 s1, s1, 0
	s_lshl_b32 s4, s6, 10
	s_mov_b32 s12, s6
	s_waitcnt lgkmcnt(0)
	s_sub_i32 s7, s7, s4
	s_getpc_b64 s[4:5]
	s_add_u32 s4, s4, _ZN2at6native25elementwise_kernel_helperILb0EZZZNS0_12_GLOBAL__N_137scaled_modified_bessel_k0_kernel_cudaERNS_18TensorIteratorBaseEENKUlvE_clEvENKUlvE_clEvEUldE_NS0_6memory8policies11unroll_baseILi256ESt5arrayIPcLm2EE23TrivialOffsetCalculatorILi1EjESF_NS8_15LoadWithoutCastENS8_16StoreWithoutCastELi4ELi1EEEEEvT0_T1_@rel32@lo+4
	s_addc_u32 s5, s5, _ZN2at6native25elementwise_kernel_helperILb0EZZZNS0_12_GLOBAL__N_137scaled_modified_bessel_k0_kernel_cudaERNS_18TensorIteratorBaseEENKUlvE_clEvENKUlvE_clEvEUldE_NS0_6memory8policies11unroll_baseILi256ESt5arrayIPcLm2EE23TrivialOffsetCalculatorILi1EjESF_NS8_15LoadWithoutCastENS8_16StoreWithoutCastELi4ELi1EEEEEvT0_T1_@rel32@hi+12
	v_mov_b32_e32 v31, v0
	v_mov_b32_e32 v0, s8
	;; [unrolled: 1-line block ×6, first 2 shown]
	s_mov_b32 s32, 0
	s_swappc_b64 s[30:31], s[4:5]
	s_endpgm
	.section	.rodata,"a",@progbits
	.p2align	6, 0x0
	.amdhsa_kernel _ZN2at6native27unrolled_elementwise_kernelIZZZNS0_12_GLOBAL__N_137scaled_modified_bessel_k0_kernel_cudaERNS_18TensorIteratorBaseEENKUlvE_clEvENKUlvE_clEvEUldE_St5arrayIPcLm2EELi4E23TrivialOffsetCalculatorILi1EjESC_NS0_6memory15LoadWithoutCastENSD_16StoreWithoutCastEEEviT_T0_T2_T3_T4_T5_
		.amdhsa_group_segment_fixed_size 0
		.amdhsa_private_segment_fixed_size 0
		.amdhsa_kernarg_size 28
		.amdhsa_user_sgpr_count 6
		.amdhsa_user_sgpr_private_segment_buffer 1
		.amdhsa_user_sgpr_dispatch_ptr 0
		.amdhsa_user_sgpr_queue_ptr 0
		.amdhsa_user_sgpr_kernarg_segment_ptr 1
		.amdhsa_user_sgpr_dispatch_id 0
		.amdhsa_user_sgpr_flat_scratch_init 0
		.amdhsa_user_sgpr_private_segment_size 0
		.amdhsa_uses_dynamic_stack 0
		.amdhsa_system_sgpr_private_segment_wavefront_offset 0
		.amdhsa_system_sgpr_workgroup_id_x 1
		.amdhsa_system_sgpr_workgroup_id_y 0
		.amdhsa_system_sgpr_workgroup_id_z 0
		.amdhsa_system_sgpr_workgroup_info 0
		.amdhsa_system_vgpr_workitem_id 0
		.amdhsa_next_free_vgpr 37
		.amdhsa_next_free_sgpr 33
		.amdhsa_reserve_vcc 1
		.amdhsa_reserve_flat_scratch 0
		.amdhsa_float_round_mode_32 0
		.amdhsa_float_round_mode_16_64 0
		.amdhsa_float_denorm_mode_32 3
		.amdhsa_float_denorm_mode_16_64 3
		.amdhsa_dx10_clamp 1
		.amdhsa_ieee_mode 1
		.amdhsa_fp16_overflow 0
		.amdhsa_exception_fp_ieee_invalid_op 0
		.amdhsa_exception_fp_denorm_src 0
		.amdhsa_exception_fp_ieee_div_zero 0
		.amdhsa_exception_fp_ieee_overflow 0
		.amdhsa_exception_fp_ieee_underflow 0
		.amdhsa_exception_fp_ieee_inexact 0
		.amdhsa_exception_int_div_zero 0
	.end_amdhsa_kernel
	.section	.text._ZN2at6native27unrolled_elementwise_kernelIZZZNS0_12_GLOBAL__N_137scaled_modified_bessel_k0_kernel_cudaERNS_18TensorIteratorBaseEENKUlvE_clEvENKUlvE_clEvEUldE_St5arrayIPcLm2EELi4E23TrivialOffsetCalculatorILi1EjESC_NS0_6memory15LoadWithoutCastENSD_16StoreWithoutCastEEEviT_T0_T2_T3_T4_T5_,"axG",@progbits,_ZN2at6native27unrolled_elementwise_kernelIZZZNS0_12_GLOBAL__N_137scaled_modified_bessel_k0_kernel_cudaERNS_18TensorIteratorBaseEENKUlvE_clEvENKUlvE_clEvEUldE_St5arrayIPcLm2EELi4E23TrivialOffsetCalculatorILi1EjESC_NS0_6memory15LoadWithoutCastENSD_16StoreWithoutCastEEEviT_T0_T2_T3_T4_T5_,comdat
.Lfunc_end6:
	.size	_ZN2at6native27unrolled_elementwise_kernelIZZZNS0_12_GLOBAL__N_137scaled_modified_bessel_k0_kernel_cudaERNS_18TensorIteratorBaseEENKUlvE_clEvENKUlvE_clEvEUldE_St5arrayIPcLm2EELi4E23TrivialOffsetCalculatorILi1EjESC_NS0_6memory15LoadWithoutCastENSD_16StoreWithoutCastEEEviT_T0_T2_T3_T4_T5_, .Lfunc_end6-_ZN2at6native27unrolled_elementwise_kernelIZZZNS0_12_GLOBAL__N_137scaled_modified_bessel_k0_kernel_cudaERNS_18TensorIteratorBaseEENKUlvE_clEvENKUlvE_clEvEUldE_St5arrayIPcLm2EELi4E23TrivialOffsetCalculatorILi1EjESC_NS0_6memory15LoadWithoutCastENSD_16StoreWithoutCastEEEviT_T0_T2_T3_T4_T5_
                                        ; -- End function
	.set _ZN2at6native27unrolled_elementwise_kernelIZZZNS0_12_GLOBAL__N_137scaled_modified_bessel_k0_kernel_cudaERNS_18TensorIteratorBaseEENKUlvE_clEvENKUlvE_clEvEUldE_St5arrayIPcLm2EELi4E23TrivialOffsetCalculatorILi1EjESC_NS0_6memory15LoadWithoutCastENSD_16StoreWithoutCastEEEviT_T0_T2_T3_T4_T5_.num_vgpr, max(32, .L_ZN2at6native25elementwise_kernel_helperILb0EZZZNS0_12_GLOBAL__N_137scaled_modified_bessel_k0_kernel_cudaERNS_18TensorIteratorBaseEENKUlvE_clEvENKUlvE_clEvEUldE_NS0_6memory8policies11unroll_baseILi256ESt5arrayIPcLm2EE23TrivialOffsetCalculatorILi1EjESF_NS8_15LoadWithoutCastENS8_16StoreWithoutCastELi4ELi1EEEEEvT0_T1_.num_vgpr)
	.set _ZN2at6native27unrolled_elementwise_kernelIZZZNS0_12_GLOBAL__N_137scaled_modified_bessel_k0_kernel_cudaERNS_18TensorIteratorBaseEENKUlvE_clEvENKUlvE_clEvEUldE_St5arrayIPcLm2EELi4E23TrivialOffsetCalculatorILi1EjESC_NS0_6memory15LoadWithoutCastENSD_16StoreWithoutCastEEEviT_T0_T2_T3_T4_T5_.num_agpr, max(0, .L_ZN2at6native25elementwise_kernel_helperILb0EZZZNS0_12_GLOBAL__N_137scaled_modified_bessel_k0_kernel_cudaERNS_18TensorIteratorBaseEENKUlvE_clEvENKUlvE_clEvEUldE_NS0_6memory8policies11unroll_baseILi256ESt5arrayIPcLm2EE23TrivialOffsetCalculatorILi1EjESF_NS8_15LoadWithoutCastENS8_16StoreWithoutCastELi4ELi1EEEEEvT0_T1_.num_agpr)
	.set _ZN2at6native27unrolled_elementwise_kernelIZZZNS0_12_GLOBAL__N_137scaled_modified_bessel_k0_kernel_cudaERNS_18TensorIteratorBaseEENKUlvE_clEvENKUlvE_clEvEUldE_St5arrayIPcLm2EELi4E23TrivialOffsetCalculatorILi1EjESC_NS0_6memory15LoadWithoutCastENSD_16StoreWithoutCastEEEviT_T0_T2_T3_T4_T5_.numbered_sgpr, max(33, .L_ZN2at6native25elementwise_kernel_helperILb0EZZZNS0_12_GLOBAL__N_137scaled_modified_bessel_k0_kernel_cudaERNS_18TensorIteratorBaseEENKUlvE_clEvENKUlvE_clEvEUldE_NS0_6memory8policies11unroll_baseILi256ESt5arrayIPcLm2EE23TrivialOffsetCalculatorILi1EjESF_NS8_15LoadWithoutCastENS8_16StoreWithoutCastELi4ELi1EEEEEvT0_T1_.numbered_sgpr)
	.set _ZN2at6native27unrolled_elementwise_kernelIZZZNS0_12_GLOBAL__N_137scaled_modified_bessel_k0_kernel_cudaERNS_18TensorIteratorBaseEENKUlvE_clEvENKUlvE_clEvEUldE_St5arrayIPcLm2EELi4E23TrivialOffsetCalculatorILi1EjESC_NS0_6memory15LoadWithoutCastENSD_16StoreWithoutCastEEEviT_T0_T2_T3_T4_T5_.num_named_barrier, max(0, .L_ZN2at6native25elementwise_kernel_helperILb0EZZZNS0_12_GLOBAL__N_137scaled_modified_bessel_k0_kernel_cudaERNS_18TensorIteratorBaseEENKUlvE_clEvENKUlvE_clEvEUldE_NS0_6memory8policies11unroll_baseILi256ESt5arrayIPcLm2EE23TrivialOffsetCalculatorILi1EjESF_NS8_15LoadWithoutCastENS8_16StoreWithoutCastELi4ELi1EEEEEvT0_T1_.num_named_barrier)
	.set _ZN2at6native27unrolled_elementwise_kernelIZZZNS0_12_GLOBAL__N_137scaled_modified_bessel_k0_kernel_cudaERNS_18TensorIteratorBaseEENKUlvE_clEvENKUlvE_clEvEUldE_St5arrayIPcLm2EELi4E23TrivialOffsetCalculatorILi1EjESC_NS0_6memory15LoadWithoutCastENSD_16StoreWithoutCastEEEviT_T0_T2_T3_T4_T5_.private_seg_size, 0+max(.L_ZN2at6native25elementwise_kernel_helperILb0EZZZNS0_12_GLOBAL__N_137scaled_modified_bessel_k0_kernel_cudaERNS_18TensorIteratorBaseEENKUlvE_clEvENKUlvE_clEvEUldE_NS0_6memory8policies11unroll_baseILi256ESt5arrayIPcLm2EE23TrivialOffsetCalculatorILi1EjESF_NS8_15LoadWithoutCastENS8_16StoreWithoutCastELi4ELi1EEEEEvT0_T1_.private_seg_size)
	.set _ZN2at6native27unrolled_elementwise_kernelIZZZNS0_12_GLOBAL__N_137scaled_modified_bessel_k0_kernel_cudaERNS_18TensorIteratorBaseEENKUlvE_clEvENKUlvE_clEvEUldE_St5arrayIPcLm2EELi4E23TrivialOffsetCalculatorILi1EjESC_NS0_6memory15LoadWithoutCastENSD_16StoreWithoutCastEEEviT_T0_T2_T3_T4_T5_.uses_vcc, or(1, .L_ZN2at6native25elementwise_kernel_helperILb0EZZZNS0_12_GLOBAL__N_137scaled_modified_bessel_k0_kernel_cudaERNS_18TensorIteratorBaseEENKUlvE_clEvENKUlvE_clEvEUldE_NS0_6memory8policies11unroll_baseILi256ESt5arrayIPcLm2EE23TrivialOffsetCalculatorILi1EjESF_NS8_15LoadWithoutCastENS8_16StoreWithoutCastELi4ELi1EEEEEvT0_T1_.uses_vcc)
	.set _ZN2at6native27unrolled_elementwise_kernelIZZZNS0_12_GLOBAL__N_137scaled_modified_bessel_k0_kernel_cudaERNS_18TensorIteratorBaseEENKUlvE_clEvENKUlvE_clEvEUldE_St5arrayIPcLm2EELi4E23TrivialOffsetCalculatorILi1EjESC_NS0_6memory15LoadWithoutCastENSD_16StoreWithoutCastEEEviT_T0_T2_T3_T4_T5_.uses_flat_scratch, or(0, .L_ZN2at6native25elementwise_kernel_helperILb0EZZZNS0_12_GLOBAL__N_137scaled_modified_bessel_k0_kernel_cudaERNS_18TensorIteratorBaseEENKUlvE_clEvENKUlvE_clEvEUldE_NS0_6memory8policies11unroll_baseILi256ESt5arrayIPcLm2EE23TrivialOffsetCalculatorILi1EjESF_NS8_15LoadWithoutCastENS8_16StoreWithoutCastELi4ELi1EEEEEvT0_T1_.uses_flat_scratch)
	.set _ZN2at6native27unrolled_elementwise_kernelIZZZNS0_12_GLOBAL__N_137scaled_modified_bessel_k0_kernel_cudaERNS_18TensorIteratorBaseEENKUlvE_clEvENKUlvE_clEvEUldE_St5arrayIPcLm2EELi4E23TrivialOffsetCalculatorILi1EjESC_NS0_6memory15LoadWithoutCastENSD_16StoreWithoutCastEEEviT_T0_T2_T3_T4_T5_.has_dyn_sized_stack, or(0, .L_ZN2at6native25elementwise_kernel_helperILb0EZZZNS0_12_GLOBAL__N_137scaled_modified_bessel_k0_kernel_cudaERNS_18TensorIteratorBaseEENKUlvE_clEvENKUlvE_clEvEUldE_NS0_6memory8policies11unroll_baseILi256ESt5arrayIPcLm2EE23TrivialOffsetCalculatorILi1EjESF_NS8_15LoadWithoutCastENS8_16StoreWithoutCastELi4ELi1EEEEEvT0_T1_.has_dyn_sized_stack)
	.set _ZN2at6native27unrolled_elementwise_kernelIZZZNS0_12_GLOBAL__N_137scaled_modified_bessel_k0_kernel_cudaERNS_18TensorIteratorBaseEENKUlvE_clEvENKUlvE_clEvEUldE_St5arrayIPcLm2EELi4E23TrivialOffsetCalculatorILi1EjESC_NS0_6memory15LoadWithoutCastENSD_16StoreWithoutCastEEEviT_T0_T2_T3_T4_T5_.has_recursion, or(0, .L_ZN2at6native25elementwise_kernel_helperILb0EZZZNS0_12_GLOBAL__N_137scaled_modified_bessel_k0_kernel_cudaERNS_18TensorIteratorBaseEENKUlvE_clEvENKUlvE_clEvEUldE_NS0_6memory8policies11unroll_baseILi256ESt5arrayIPcLm2EE23TrivialOffsetCalculatorILi1EjESF_NS8_15LoadWithoutCastENS8_16StoreWithoutCastELi4ELi1EEEEEvT0_T1_.has_recursion)
	.set _ZN2at6native27unrolled_elementwise_kernelIZZZNS0_12_GLOBAL__N_137scaled_modified_bessel_k0_kernel_cudaERNS_18TensorIteratorBaseEENKUlvE_clEvENKUlvE_clEvEUldE_St5arrayIPcLm2EELi4E23TrivialOffsetCalculatorILi1EjESC_NS0_6memory15LoadWithoutCastENSD_16StoreWithoutCastEEEviT_T0_T2_T3_T4_T5_.has_indirect_call, or(0, .L_ZN2at6native25elementwise_kernel_helperILb0EZZZNS0_12_GLOBAL__N_137scaled_modified_bessel_k0_kernel_cudaERNS_18TensorIteratorBaseEENKUlvE_clEvENKUlvE_clEvEUldE_NS0_6memory8policies11unroll_baseILi256ESt5arrayIPcLm2EE23TrivialOffsetCalculatorILi1EjESF_NS8_15LoadWithoutCastENS8_16StoreWithoutCastELi4ELi1EEEEEvT0_T1_.has_indirect_call)
	.section	.AMDGPU.csdata,"",@progbits
; Kernel info:
; codeLenInByte = 96
; TotalNumSgprs: 37
; NumVgprs: 37
; ScratchSize: 0
; MemoryBound: 0
; FloatMode: 240
; IeeeMode: 1
; LDSByteSize: 0 bytes/workgroup (compile time only)
; SGPRBlocks: 4
; VGPRBlocks: 9
; NumSGPRsForWavesPerEU: 37
; NumVGPRsForWavesPerEU: 37
; Occupancy: 6
; WaveLimiterHint : 0
; COMPUTE_PGM_RSRC2:SCRATCH_EN: 0
; COMPUTE_PGM_RSRC2:USER_SGPR: 6
; COMPUTE_PGM_RSRC2:TRAP_HANDLER: 0
; COMPUTE_PGM_RSRC2:TGID_X_EN: 1
; COMPUTE_PGM_RSRC2:TGID_Y_EN: 0
; COMPUTE_PGM_RSRC2:TGID_Z_EN: 0
; COMPUTE_PGM_RSRC2:TIDIG_COMP_CNT: 0
	.section	.text._ZN2at6native32elementwise_kernel_manual_unrollILi128ELi4EZNS0_22gpu_kernel_impl_nocastIZZZNS0_12_GLOBAL__N_137scaled_modified_bessel_k0_kernel_cudaERNS_18TensorIteratorBaseEENKUlvE_clEvENKUlvE_clEvEUldE_EEvS5_RKT_EUlibE_EEviT1_,"axG",@progbits,_ZN2at6native32elementwise_kernel_manual_unrollILi128ELi4EZNS0_22gpu_kernel_impl_nocastIZZZNS0_12_GLOBAL__N_137scaled_modified_bessel_k0_kernel_cudaERNS_18TensorIteratorBaseEENKUlvE_clEvENKUlvE_clEvEUldE_EEvS5_RKT_EUlibE_EEviT1_,comdat
	.globl	_ZN2at6native32elementwise_kernel_manual_unrollILi128ELi4EZNS0_22gpu_kernel_impl_nocastIZZZNS0_12_GLOBAL__N_137scaled_modified_bessel_k0_kernel_cudaERNS_18TensorIteratorBaseEENKUlvE_clEvENKUlvE_clEvEUldE_EEvS5_RKT_EUlibE_EEviT1_ ; -- Begin function _ZN2at6native32elementwise_kernel_manual_unrollILi128ELi4EZNS0_22gpu_kernel_impl_nocastIZZZNS0_12_GLOBAL__N_137scaled_modified_bessel_k0_kernel_cudaERNS_18TensorIteratorBaseEENKUlvE_clEvENKUlvE_clEvEUldE_EEvS5_RKT_EUlibE_EEviT1_
	.p2align	8
	.type	_ZN2at6native32elementwise_kernel_manual_unrollILi128ELi4EZNS0_22gpu_kernel_impl_nocastIZZZNS0_12_GLOBAL__N_137scaled_modified_bessel_k0_kernel_cudaERNS_18TensorIteratorBaseEENKUlvE_clEvENKUlvE_clEvEUldE_EEvS5_RKT_EUlibE_EEviT1_,@function
_ZN2at6native32elementwise_kernel_manual_unrollILi128ELi4EZNS0_22gpu_kernel_impl_nocastIZZZNS0_12_GLOBAL__N_137scaled_modified_bessel_k0_kernel_cudaERNS_18TensorIteratorBaseEENKUlvE_clEvENKUlvE_clEvEUldE_EEvS5_RKT_EUlibE_EEviT1_: ; @_ZN2at6native32elementwise_kernel_manual_unrollILi128ELi4EZNS0_22gpu_kernel_impl_nocastIZZZNS0_12_GLOBAL__N_137scaled_modified_bessel_k0_kernel_cudaERNS_18TensorIteratorBaseEENKUlvE_clEvENKUlvE_clEvEUldE_EEvS5_RKT_EUlibE_EEviT1_
; %bb.0:
	s_load_dword s55, s[4:5], 0x0
	s_load_dword s33, s[4:5], 0x8
	s_add_u32 s34, s4, 8
	s_addc_u32 s35, s5, 0
	v_lshl_or_b32 v11, s6, 9, v0
	v_or_b32_e32 v9, 0x180, v11
	s_waitcnt lgkmcnt(0)
	s_add_i32 s54, s33, -1
	s_cmp_gt_u32 s54, 1
	v_cmp_le_i32_e32 vcc, s55, v9
	s_cselect_b64 s[36:37], -1, 0
	s_and_saveexec_b64 s[0:1], vcc
	s_xor_b64 s[38:39], exec, s[0:1]
	s_cbranch_execz .LBB7_7
; %bb.1:
	s_load_dwordx4 s[24:27], s[34:35], 0x4
	s_load_dwordx2 s[40:41], s[34:35], 0x14
	s_load_dwordx4 s[20:23], s[34:35], 0xc4
	s_load_dwordx4 s[16:19], s[34:35], 0x148
	s_cmp_lg_u32 s33, 0
	s_cselect_b64 s[46:47], -1, 0
	s_add_u32 s44, s34, 0xc4
	s_addc_u32 s45, s35, 0
	s_min_u32 s56, s54, 15
	s_cmp_gt_u32 s33, 1
	s_cselect_b64 s[42:43], -1, 0
	v_cmp_gt_i32_e32 vcc, s55, v11
	s_and_saveexec_b64 s[48:49], vcc
	s_cbranch_execz .LBB7_14
; %bb.2:
	s_andn2_b64 vcc, exec, s[36:37]
	s_cbranch_vccnz .LBB7_21
; %bb.3:
	s_andn2_b64 vcc, exec, s[46:47]
	s_cbranch_vccnz .LBB7_105
; %bb.4:
	s_add_i32 s58, s56, 1
	s_cmp_eq_u32 s54, 2
	s_cbranch_scc1 .LBB7_107
; %bb.5:
	s_and_b32 s57, s58, 28
	v_mov_b32_e32 v2, 0
	s_mov_b32 s59, 0
	s_mov_b64 s[50:51], s[34:35]
	s_mov_b64 s[52:53], s[44:45]
	v_mov_b32_e32 v0, 0
	v_mov_b32_e32 v1, v11
.LBB7_6:                                ; =>This Inner Loop Header: Depth=1
	s_load_dwordx8 s[8:15], s[50:51], 0x4
	s_load_dwordx4 s[28:31], s[50:51], 0x24
	s_load_dwordx8 s[0:7], s[52:53], 0x0
	s_add_u32 s50, s50, 48
	s_addc_u32 s51, s51, 0
	s_waitcnt lgkmcnt(0)
	v_mul_hi_u32 v3, s9, v1
	s_add_i32 s59, s59, 4
	s_add_u32 s52, s52, 32
	s_addc_u32 s53, s53, 0
	v_add_u32_e32 v3, v1, v3
	v_lshrrev_b32_e32 v3, s10, v3
	v_mul_lo_u32 v4, v3, s8
	v_mul_hi_u32 v5, s12, v3
	s_cmp_lg_u32 s57, s59
	v_sub_u32_e32 v1, v1, v4
	v_add_u32_e32 v4, v3, v5
	v_mul_lo_u32 v5, v1, s0
	v_mul_lo_u32 v6, v1, s1
	v_lshrrev_b32_e32 v1, s13, v4
	v_mul_lo_u32 v4, v1, s11
	v_mul_hi_u32 v7, s15, v1
	v_sub_u32_e32 v3, v3, v4
	v_add_u32_e32 v4, v1, v7
	v_lshrrev_b32_e32 v4, s28, v4
	v_mul_hi_u32 v8, s30, v4
	v_mul_lo_u32 v9, v4, s14
	v_mul_lo_u32 v7, v3, s2
	v_mul_lo_u32 v3, v3, s3
	v_sub_u32_e32 v9, v1, v9
	v_add_u32_e32 v1, v4, v8
	v_lshrrev_b32_e32 v1, s31, v1
	v_mul_lo_u32 v8, v1, s29
	v_mul_lo_u32 v10, v9, s4
	;; [unrolled: 1-line block ×3, first 2 shown]
	v_add3_u32 v0, v5, v0, v7
	v_sub_u32_e32 v4, v4, v8
	v_mul_lo_u32 v8, v4, s6
	v_mul_lo_u32 v4, v4, s7
	v_add3_u32 v2, v6, v2, v3
	v_add3_u32 v0, v10, v0, v8
	;; [unrolled: 1-line block ×3, first 2 shown]
	s_cbranch_scc1 .LBB7_6
	s_branch .LBB7_108
.LBB7_7:
	s_andn2_saveexec_b64 s[0:1], s[38:39]
	s_cbranch_execz .LBB7_149
.LBB7_8:
	v_cndmask_b32_e64 v0, 0, 1, s[36:37]
	v_cmp_ne_u32_e64 s[0:1], 1, v0
	s_andn2_b64 vcc, exec, s[36:37]
	s_cbranch_vccnz .LBB7_20
; %bb.9:
	s_cmp_lg_u32 s33, 0
	s_waitcnt lgkmcnt(0)
	s_mov_b32 s26, 0
	s_cbranch_scc0 .LBB7_23
; %bb.10:
	s_min_u32 s27, s54, 15
	s_add_i32 s27, s27, 1
	s_cmp_eq_u32 s54, 2
	s_cbranch_scc1 .LBB7_24
; %bb.11:
	s_and_b32 s26, s27, 28
	s_add_u32 s2, s34, 0xc4
	s_addc_u32 s3, s35, 0
	v_mov_b32_e32 v7, 0
	s_mov_b32 s28, 0
	s_mov_b64 s[24:25], s[34:35]
	v_mov_b32_e32 v0, 0
	v_mov_b32_e32 v1, v11
.LBB7_12:                               ; =>This Inner Loop Header: Depth=1
	s_load_dwordx8 s[12:19], s[24:25], 0x4
	s_load_dwordx4 s[20:23], s[24:25], 0x24
	s_load_dwordx8 s[4:11], s[2:3], 0x0
	s_add_u32 s24, s24, 48
	s_addc_u32 s25, s25, 0
	s_waitcnt lgkmcnt(0)
	v_mul_hi_u32 v2, s13, v1
	s_add_i32 s28, s28, 4
	s_add_u32 s2, s2, 32
	s_addc_u32 s3, s3, 0
	v_add_u32_e32 v2, v1, v2
	v_lshrrev_b32_e32 v2, s14, v2
	v_mul_lo_u32 v3, v2, s12
	v_mul_hi_u32 v4, s16, v2
	s_cmp_lg_u32 s26, s28
	v_sub_u32_e32 v1, v1, v3
	v_add_u32_e32 v3, v2, v4
	v_mul_lo_u32 v4, v1, s4
	v_mul_lo_u32 v5, v1, s5
	v_lshrrev_b32_e32 v1, s17, v3
	v_mul_lo_u32 v3, v1, s15
	v_mul_hi_u32 v6, s19, v1
	v_sub_u32_e32 v2, v2, v3
	v_add_u32_e32 v3, v1, v6
	v_lshrrev_b32_e32 v3, s20, v3
	v_mul_hi_u32 v8, s22, v3
	v_mul_lo_u32 v10, v3, s18
	v_mul_lo_u32 v6, v2, s6
	;; [unrolled: 1-line block ×3, first 2 shown]
	v_sub_u32_e32 v10, v1, v10
	v_add_u32_e32 v1, v3, v8
	v_lshrrev_b32_e32 v1, s23, v1
	v_mul_lo_u32 v8, v1, s21
	v_mul_lo_u32 v12, v10, s8
	;; [unrolled: 1-line block ×3, first 2 shown]
	v_add3_u32 v0, v4, v0, v6
	v_sub_u32_e32 v3, v3, v8
	v_mul_lo_u32 v8, v3, s10
	v_mul_lo_u32 v3, v3, s11
	v_add3_u32 v2, v5, v7, v2
	v_add3_u32 v0, v12, v0, v8
	;; [unrolled: 1-line block ×3, first 2 shown]
	s_cbranch_scc1 .LBB7_12
; %bb.13:
	s_and_b32 s6, s27, 3
	s_cmp_eq_u32 s6, 0
	s_cbranch_scc0 .LBB7_25
	s_branch .LBB7_27
.LBB7_14:
	s_or_b64 exec, exec, s[48:49]
	v_cmp_gt_i32_e32 vcc, s55, v11
	s_and_saveexec_b64 s[48:49], vcc
	s_cbranch_execz .LBB7_123
.LBB7_15:
	s_andn2_b64 vcc, exec, s[36:37]
	s_cbranch_vccnz .LBB7_22
; %bb.16:
	s_andn2_b64 vcc, exec, s[46:47]
	s_cbranch_vccnz .LBB7_106
; %bb.17:
	s_add_i32 s58, s56, 1
	s_cmp_eq_u32 s54, 2
	s_cbranch_scc1 .LBB7_131
; %bb.18:
	s_and_b32 s57, s58, 28
	v_mov_b32_e32 v2, 0
	s_mov_b32 s59, 0
	s_mov_b64 s[50:51], s[34:35]
	s_mov_b64 s[52:53], s[44:45]
	v_mov_b32_e32 v0, 0
	v_mov_b32_e32 v1, v11
.LBB7_19:                               ; =>This Inner Loop Header: Depth=1
	s_load_dwordx8 s[8:15], s[50:51], 0x4
	s_load_dwordx4 s[28:31], s[50:51], 0x24
	s_load_dwordx8 s[0:7], s[52:53], 0x0
	s_add_u32 s50, s50, 48
	s_addc_u32 s51, s51, 0
	s_waitcnt lgkmcnt(0)
	v_mul_hi_u32 v3, s9, v1
	s_add_i32 s59, s59, 4
	s_add_u32 s52, s52, 32
	s_addc_u32 s53, s53, 0
	v_add_u32_e32 v3, v1, v3
	v_lshrrev_b32_e32 v3, s10, v3
	v_mul_lo_u32 v4, v3, s8
	v_mul_hi_u32 v5, s12, v3
	s_cmp_eq_u32 s57, s59
	v_sub_u32_e32 v1, v1, v4
	v_add_u32_e32 v4, v3, v5
	v_mul_lo_u32 v5, v1, s0
	v_mul_lo_u32 v6, v1, s1
	v_lshrrev_b32_e32 v1, s13, v4
	v_mul_lo_u32 v4, v1, s11
	v_mul_hi_u32 v7, s15, v1
	v_sub_u32_e32 v3, v3, v4
	v_add_u32_e32 v4, v1, v7
	v_lshrrev_b32_e32 v4, s28, v4
	v_mul_hi_u32 v8, s30, v4
	v_mul_lo_u32 v9, v4, s14
	v_mul_lo_u32 v7, v3, s2
	;; [unrolled: 1-line block ×3, first 2 shown]
	v_sub_u32_e32 v9, v1, v9
	v_add_u32_e32 v1, v4, v8
	v_lshrrev_b32_e32 v1, s31, v1
	v_mul_lo_u32 v8, v1, s29
	v_mul_lo_u32 v10, v9, s4
	;; [unrolled: 1-line block ×3, first 2 shown]
	v_add3_u32 v0, v5, v0, v7
	v_sub_u32_e32 v4, v4, v8
	v_mul_lo_u32 v8, v4, s6
	v_mul_lo_u32 v4, v4, s7
	v_add3_u32 v2, v6, v2, v3
	v_add3_u32 v0, v10, v0, v8
	;; [unrolled: 1-line block ×3, first 2 shown]
	s_cbranch_scc0 .LBB7_19
	s_branch .LBB7_132
.LBB7_20:
                                        ; implicit-def: $vgpr0
                                        ; implicit-def: $vgpr7
	s_branch .LBB7_28
.LBB7_21:
                                        ; implicit-def: $vgpr0
                                        ; implicit-def: $vgpr2
	s_branch .LBB7_112
.LBB7_22:
                                        ; implicit-def: $vgpr0
                                        ; implicit-def: $vgpr2
	s_branch .LBB7_136
.LBB7_23:
	v_mov_b32_e32 v0, 0
	v_mov_b32_e32 v7, 0
	s_branch .LBB7_27
.LBB7_24:
	v_mov_b32_e32 v0, 0
	v_mov_b32_e32 v7, 0
	;; [unrolled: 1-line block ×3, first 2 shown]
	s_and_b32 s6, s27, 3
	s_cmp_eq_u32 s6, 0
	s_cbranch_scc1 .LBB7_27
.LBB7_25:
	s_lshl_b32 s2, s26, 3
	s_add_u32 s2, s34, s2
	s_addc_u32 s3, s35, 0
	s_add_u32 s2, s2, 0xc4
	s_addc_u32 s3, s3, 0
	s_mul_i32 s4, s26, 12
	s_add_u32 s4, s34, s4
	s_addc_u32 s5, s35, 0
.LBB7_26:                               ; =>This Inner Loop Header: Depth=1
	s_load_dwordx2 s[8:9], s[4:5], 0x4
	s_load_dword s7, s[4:5], 0xc
	s_load_dwordx2 s[10:11], s[2:3], 0x0
	s_add_u32 s4, s4, 12
	s_addc_u32 s5, s5, 0
	s_waitcnt lgkmcnt(0)
	v_mul_hi_u32 v2, s9, v1
	s_add_u32 s2, s2, 8
	s_addc_u32 s3, s3, 0
	s_add_i32 s6, s6, -1
	v_add_u32_e32 v2, v1, v2
	v_lshrrev_b32_e32 v2, s7, v2
	v_mul_lo_u32 v3, v2, s8
	s_cmp_lg_u32 s6, 0
	v_sub_u32_e32 v3, v1, v3
	v_mad_u64_u32 v[0:1], s[8:9], v3, s10, v[0:1]
	v_mad_u64_u32 v[7:8], s[8:9], v3, s11, v[7:8]
	v_mov_b32_e32 v1, v2
	s_cbranch_scc1 .LBB7_26
.LBB7_27:
	s_cbranch_execnz .LBB7_30
.LBB7_28:
	s_load_dwordx4 s[4:7], s[34:35], 0x4
	s_load_dwordx2 s[2:3], s[34:35], 0xc4
	s_cmp_lt_u32 s33, 2
	s_waitcnt lgkmcnt(0)
	v_mul_hi_u32 v0, s5, v11
	v_add_u32_e32 v0, v11, v0
	v_lshrrev_b32_e32 v1, s6, v0
	v_mul_lo_u32 v0, v1, s4
	v_sub_u32_e32 v2, v11, v0
	v_mul_lo_u32 v0, v2, s2
	v_mul_lo_u32 v7, v2, s3
	s_cbranch_scc1 .LBB7_30
; %bb.29:
	s_load_dwordx4 s[4:7], s[34:35], 0x10
	s_load_dwordx2 s[2:3], s[34:35], 0xcc
	s_waitcnt lgkmcnt(0)
	v_mul_hi_u32 v2, s5, v1
	v_add_u32_e32 v2, v1, v2
	v_lshrrev_b32_e32 v2, s6, v2
	v_mul_lo_u32 v2, v2, s4
	v_sub_u32_e32 v2, v1, v2
	v_mad_u64_u32 v[0:1], s[4:5], v2, s2, v[0:1]
	v_mad_u64_u32 v[7:8], s[2:3], v2, s3, v[7:8]
.LBB7_30:
	s_and_b64 vcc, exec, s[0:1]
	v_add_u32_e32 v3, 0x80, v11
	s_cbranch_vccnz .LBB7_36
; %bb.31:
	s_cmp_lg_u32 s33, 0
	s_waitcnt lgkmcnt(0)
	s_mov_b32 s26, 0
	s_cbranch_scc0 .LBB7_37
; %bb.32:
	s_min_u32 s27, s54, 15
	s_add_i32 s27, s27, 1
	s_cmp_eq_u32 s54, 2
	s_cbranch_scc1 .LBB7_38
; %bb.33:
	s_and_b32 s26, s27, 28
	s_add_u32 s2, s34, 0xc4
	s_addc_u32 s3, s35, 0
	v_mov_b32_e32 v12, 0
	s_mov_b32 s28, 0
	s_mov_b64 s[24:25], s[34:35]
	v_mov_b32_e32 v1, 0
	v_mov_b32_e32 v2, v3
.LBB7_34:                               ; =>This Inner Loop Header: Depth=1
	s_load_dwordx8 s[12:19], s[24:25], 0x4
	s_load_dwordx4 s[20:23], s[24:25], 0x24
	s_load_dwordx8 s[4:11], s[2:3], 0x0
	s_add_u32 s24, s24, 48
	s_addc_u32 s25, s25, 0
	s_waitcnt lgkmcnt(0)
	v_mul_hi_u32 v4, s13, v2
	s_add_i32 s28, s28, 4
	s_add_u32 s2, s2, 32
	s_addc_u32 s3, s3, 0
	v_add_u32_e32 v4, v2, v4
	v_lshrrev_b32_e32 v4, s14, v4
	v_mul_lo_u32 v5, v4, s12
	v_mul_hi_u32 v6, s16, v4
	s_cmp_lg_u32 s26, s28
	v_sub_u32_e32 v2, v2, v5
	v_add_u32_e32 v5, v4, v6
	v_mul_lo_u32 v6, v2, s4
	v_mul_lo_u32 v8, v2, s5
	v_lshrrev_b32_e32 v2, s17, v5
	v_mul_lo_u32 v5, v2, s15
	v_mul_hi_u32 v10, s19, v2
	v_sub_u32_e32 v4, v4, v5
	v_add_u32_e32 v5, v2, v10
	v_lshrrev_b32_e32 v5, s20, v5
	v_mul_hi_u32 v13, s22, v5
	v_mul_lo_u32 v14, v5, s18
	v_mul_lo_u32 v10, v4, s6
	;; [unrolled: 1-line block ×3, first 2 shown]
	v_sub_u32_e32 v14, v2, v14
	v_add_u32_e32 v2, v5, v13
	v_lshrrev_b32_e32 v2, s23, v2
	v_mul_lo_u32 v13, v2, s21
	v_mul_lo_u32 v15, v14, s8
	;; [unrolled: 1-line block ×3, first 2 shown]
	v_add3_u32 v1, v6, v1, v10
	v_sub_u32_e32 v5, v5, v13
	v_mul_lo_u32 v13, v5, s10
	v_mul_lo_u32 v5, v5, s11
	v_add3_u32 v4, v8, v12, v4
	v_add3_u32 v1, v15, v1, v13
	;; [unrolled: 1-line block ×3, first 2 shown]
	s_cbranch_scc1 .LBB7_34
; %bb.35:
	s_and_b32 s6, s27, 3
	s_cmp_eq_u32 s6, 0
	s_cbranch_scc0 .LBB7_39
	s_branch .LBB7_41
.LBB7_36:
                                        ; implicit-def: $vgpr1
                                        ; implicit-def: $vgpr12
	s_branch .LBB7_42
.LBB7_37:
	v_mov_b32_e32 v1, 0
	v_mov_b32_e32 v12, 0
	s_branch .LBB7_41
.LBB7_38:
	v_mov_b32_e32 v1, 0
	v_mov_b32_e32 v12, 0
	;; [unrolled: 1-line block ×3, first 2 shown]
	s_and_b32 s6, s27, 3
	s_cmp_eq_u32 s6, 0
	s_cbranch_scc1 .LBB7_41
.LBB7_39:
	s_lshl_b32 s2, s26, 3
	s_add_u32 s2, s34, s2
	s_addc_u32 s3, s35, 0
	s_add_u32 s2, s2, 0xc4
	s_addc_u32 s3, s3, 0
	s_mul_i32 s4, s26, 12
	s_add_u32 s4, s34, s4
	s_addc_u32 s5, s35, 0
.LBB7_40:                               ; =>This Inner Loop Header: Depth=1
	s_load_dwordx2 s[8:9], s[4:5], 0x4
	s_load_dword s7, s[4:5], 0xc
	s_load_dwordx2 s[10:11], s[2:3], 0x0
	s_add_u32 s4, s4, 12
	s_addc_u32 s5, s5, 0
	s_waitcnt lgkmcnt(0)
	v_mul_hi_u32 v4, s9, v2
	s_add_u32 s2, s2, 8
	s_addc_u32 s3, s3, 0
	s_add_i32 s6, s6, -1
	v_add_u32_e32 v4, v2, v4
	v_lshrrev_b32_e32 v4, s7, v4
	v_mul_lo_u32 v5, v4, s8
	s_cmp_lg_u32 s6, 0
	v_sub_u32_e32 v5, v2, v5
	v_mad_u64_u32 v[1:2], s[8:9], v5, s10, v[1:2]
	v_mad_u64_u32 v[12:13], s[8:9], v5, s11, v[12:13]
	v_mov_b32_e32 v2, v4
	s_cbranch_scc1 .LBB7_40
.LBB7_41:
	s_cbranch_execnz .LBB7_44
.LBB7_42:
	s_load_dwordx4 s[4:7], s[34:35], 0x4
	s_load_dwordx2 s[2:3], s[34:35], 0xc4
	s_cmp_lt_u32 s33, 2
	s_waitcnt lgkmcnt(0)
	v_mul_hi_u32 v1, s5, v3
	v_add_u32_e32 v1, v3, v1
	v_lshrrev_b32_e32 v2, s6, v1
	v_mul_lo_u32 v1, v2, s4
	v_sub_u32_e32 v3, v3, v1
	v_mul_lo_u32 v1, v3, s2
	v_mul_lo_u32 v12, v3, s3
	s_cbranch_scc1 .LBB7_44
; %bb.43:
	s_load_dwordx4 s[4:7], s[34:35], 0x10
	s_load_dwordx2 s[2:3], s[34:35], 0xcc
	s_waitcnt lgkmcnt(0)
	v_mul_hi_u32 v3, s5, v2
	v_add_u32_e32 v3, v2, v3
	v_lshrrev_b32_e32 v3, s6, v3
	v_mul_lo_u32 v3, v3, s4
	v_sub_u32_e32 v3, v2, v3
	v_mad_u64_u32 v[1:2], s[4:5], v3, s2, v[1:2]
	v_mad_u64_u32 v[12:13], s[2:3], v3, s3, v[12:13]
.LBB7_44:
	s_and_b64 vcc, exec, s[0:1]
	v_add_u32_e32 v4, 0x100, v11
	s_cbranch_vccnz .LBB7_50
; %bb.45:
	s_cmp_lg_u32 s33, 0
	s_waitcnt lgkmcnt(0)
	s_mov_b32 s26, 0
	s_cbranch_scc0 .LBB7_51
; %bb.46:
	s_min_u32 s27, s54, 15
	s_add_i32 s27, s27, 1
	s_cmp_eq_u32 s54, 2
	s_cbranch_scc1 .LBB7_52
; %bb.47:
	s_and_b32 s26, s27, 28
	s_add_u32 s2, s34, 0xc4
	s_addc_u32 s3, s35, 0
	v_mov_b32_e32 v10, 0
	s_mov_b32 s28, 0
	s_mov_b64 s[24:25], s[34:35]
	v_mov_b32_e32 v2, 0
	v_mov_b32_e32 v3, v4
.LBB7_48:                               ; =>This Inner Loop Header: Depth=1
	s_load_dwordx8 s[12:19], s[24:25], 0x4
	s_load_dwordx4 s[20:23], s[24:25], 0x24
	s_load_dwordx8 s[4:11], s[2:3], 0x0
	s_add_u32 s24, s24, 48
	s_addc_u32 s25, s25, 0
	s_waitcnt lgkmcnt(0)
	v_mul_hi_u32 v5, s13, v3
	s_add_i32 s28, s28, 4
	s_add_u32 s2, s2, 32
	s_addc_u32 s3, s3, 0
	v_add_u32_e32 v5, v3, v5
	v_lshrrev_b32_e32 v5, s14, v5
	v_mul_lo_u32 v6, v5, s12
	v_mul_hi_u32 v8, s16, v5
	s_cmp_lg_u32 s26, s28
	v_sub_u32_e32 v3, v3, v6
	v_add_u32_e32 v6, v5, v8
	v_mul_lo_u32 v8, v3, s4
	v_mul_lo_u32 v11, v3, s5
	v_lshrrev_b32_e32 v3, s17, v6
	v_mul_lo_u32 v6, v3, s15
	v_mul_hi_u32 v13, s19, v3
	v_sub_u32_e32 v5, v5, v6
	v_add_u32_e32 v6, v3, v13
	v_lshrrev_b32_e32 v6, s20, v6
	v_mul_hi_u32 v14, s22, v6
	v_mul_lo_u32 v15, v6, s18
	v_mul_lo_u32 v13, v5, s6
	;; [unrolled: 1-line block ×3, first 2 shown]
	v_sub_u32_e32 v15, v3, v15
	v_add_u32_e32 v3, v6, v14
	v_lshrrev_b32_e32 v3, s23, v3
	v_mul_lo_u32 v14, v3, s21
	v_mul_lo_u32 v16, v15, s8
	;; [unrolled: 1-line block ×3, first 2 shown]
	v_add3_u32 v2, v8, v2, v13
	v_sub_u32_e32 v6, v6, v14
	v_mul_lo_u32 v14, v6, s10
	v_mul_lo_u32 v6, v6, s11
	v_add3_u32 v5, v11, v10, v5
	v_add3_u32 v2, v16, v2, v14
	;; [unrolled: 1-line block ×3, first 2 shown]
	s_cbranch_scc1 .LBB7_48
; %bb.49:
	s_and_b32 s6, s27, 3
	s_cmp_eq_u32 s6, 0
	s_cbranch_scc0 .LBB7_53
	s_branch .LBB7_55
.LBB7_50:
                                        ; implicit-def: $vgpr2
                                        ; implicit-def: $vgpr10
	s_branch .LBB7_56
.LBB7_51:
	v_mov_b32_e32 v2, 0
	v_mov_b32_e32 v10, 0
	s_branch .LBB7_55
.LBB7_52:
	v_mov_b32_e32 v2, 0
	v_mov_b32_e32 v10, 0
	;; [unrolled: 1-line block ×3, first 2 shown]
	s_and_b32 s6, s27, 3
	s_cmp_eq_u32 s6, 0
	s_cbranch_scc1 .LBB7_55
.LBB7_53:
	s_lshl_b32 s2, s26, 3
	s_add_u32 s2, s34, s2
	s_addc_u32 s3, s35, 0
	s_add_u32 s2, s2, 0xc4
	s_addc_u32 s3, s3, 0
	s_mul_i32 s4, s26, 12
	s_add_u32 s4, s34, s4
	s_addc_u32 s5, s35, 0
.LBB7_54:                               ; =>This Inner Loop Header: Depth=1
	s_load_dwordx2 s[8:9], s[4:5], 0x4
	s_load_dword s7, s[4:5], 0xc
	s_load_dwordx2 s[10:11], s[2:3], 0x0
	s_add_u32 s4, s4, 12
	s_addc_u32 s5, s5, 0
	s_waitcnt lgkmcnt(0)
	v_mul_hi_u32 v5, s9, v3
	s_add_u32 s2, s2, 8
	s_addc_u32 s3, s3, 0
	s_add_i32 s6, s6, -1
	v_add_u32_e32 v5, v3, v5
	v_lshrrev_b32_e32 v5, s7, v5
	v_mul_lo_u32 v6, v5, s8
	s_cmp_lg_u32 s6, 0
	v_sub_u32_e32 v6, v3, v6
	v_mad_u64_u32 v[2:3], s[8:9], v6, s10, v[2:3]
	v_mad_u64_u32 v[10:11], s[8:9], v6, s11, v[10:11]
	v_mov_b32_e32 v3, v5
	s_cbranch_scc1 .LBB7_54
.LBB7_55:
	s_cbranch_execnz .LBB7_58
.LBB7_56:
	s_load_dwordx4 s[4:7], s[34:35], 0x4
	s_load_dwordx2 s[2:3], s[34:35], 0xc4
	s_cmp_lt_u32 s33, 2
	s_waitcnt lgkmcnt(0)
	v_mul_hi_u32 v2, s5, v4
	v_add_u32_e32 v2, v4, v2
	v_lshrrev_b32_e32 v3, s6, v2
	v_mul_lo_u32 v2, v3, s4
	v_sub_u32_e32 v4, v4, v2
	v_mul_lo_u32 v2, v4, s2
	v_mul_lo_u32 v10, v4, s3
	s_cbranch_scc1 .LBB7_58
; %bb.57:
	s_load_dwordx4 s[4:7], s[34:35], 0x10
	s_load_dwordx2 s[2:3], s[34:35], 0xcc
	s_waitcnt lgkmcnt(0)
	v_mul_hi_u32 v4, s5, v3
	v_add_u32_e32 v4, v3, v4
	v_lshrrev_b32_e32 v4, s6, v4
	v_mul_lo_u32 v4, v4, s4
	v_sub_u32_e32 v4, v3, v4
	v_mad_u64_u32 v[2:3], s[4:5], v4, s2, v[2:3]
	v_mad_u64_u32 v[10:11], s[2:3], v4, s3, v[10:11]
.LBB7_58:
	s_and_b64 vcc, exec, s[0:1]
	s_cbranch_vccnz .LBB7_64
; %bb.59:
	s_cmp_lg_u32 s33, 0
	s_waitcnt lgkmcnt(0)
	s_mov_b32 s24, 0
	s_cbranch_scc0 .LBB7_65
; %bb.60:
	s_min_u32 s25, s54, 15
	s_add_i32 s25, s25, 1
	s_cmp_eq_u32 s54, 2
	s_cbranch_scc1 .LBB7_66
; %bb.61:
	s_and_b32 s24, s25, 28
	s_add_u32 s20, s34, 0xc4
	s_addc_u32 s21, s35, 0
	v_mov_b32_e32 v5, 0
	s_mov_b32 s26, 0
	s_mov_b64 s[22:23], s[34:35]
	v_mov_b32_e32 v3, 0
	v_mov_b32_e32 v4, v9
.LBB7_62:                               ; =>This Inner Loop Header: Depth=1
	s_load_dwordx8 s[8:15], s[22:23], 0x4
	s_load_dwordx4 s[16:19], s[22:23], 0x24
	s_load_dwordx8 s[0:7], s[20:21], 0x0
	s_add_u32 s22, s22, 48
	s_addc_u32 s23, s23, 0
	s_waitcnt lgkmcnt(0)
	v_mul_hi_u32 v6, s9, v4
	s_add_i32 s26, s26, 4
	s_add_u32 s20, s20, 32
	s_addc_u32 s21, s21, 0
	v_add_u32_e32 v6, v4, v6
	v_lshrrev_b32_e32 v6, s10, v6
	v_mul_lo_u32 v8, v6, s8
	v_mul_hi_u32 v11, s12, v6
	s_cmp_lg_u32 s24, s26
	v_sub_u32_e32 v4, v4, v8
	v_add_u32_e32 v8, v6, v11
	v_mul_lo_u32 v11, v4, s0
	v_mul_lo_u32 v13, v4, s1
	v_lshrrev_b32_e32 v4, s13, v8
	v_mul_lo_u32 v8, v4, s11
	v_mul_hi_u32 v14, s15, v4
	v_sub_u32_e32 v6, v6, v8
	v_add_u32_e32 v8, v4, v14
	v_lshrrev_b32_e32 v8, s16, v8
	v_mul_hi_u32 v15, s18, v8
	v_mul_lo_u32 v16, v8, s14
	v_mul_lo_u32 v14, v6, s2
	v_mul_lo_u32 v6, v6, s3
	v_sub_u32_e32 v16, v4, v16
	v_add_u32_e32 v4, v8, v15
	v_lshrrev_b32_e32 v4, s19, v4
	v_mul_lo_u32 v15, v4, s17
	v_mul_lo_u32 v17, v16, s4
	;; [unrolled: 1-line block ×3, first 2 shown]
	v_add3_u32 v3, v11, v3, v14
	v_sub_u32_e32 v8, v8, v15
	v_mul_lo_u32 v15, v8, s6
	v_mul_lo_u32 v8, v8, s7
	v_add3_u32 v5, v13, v5, v6
	v_add3_u32 v3, v17, v3, v15
	;; [unrolled: 1-line block ×3, first 2 shown]
	s_cbranch_scc1 .LBB7_62
; %bb.63:
	s_and_b32 s4, s25, 3
	s_cmp_eq_u32 s4, 0
	s_cbranch_scc0 .LBB7_67
	s_branch .LBB7_69
.LBB7_64:
                                        ; implicit-def: $vgpr3
                                        ; implicit-def: $vgpr5
	s_branch .LBB7_70
.LBB7_65:
	v_mov_b32_e32 v3, 0
	v_mov_b32_e32 v5, 0
	s_branch .LBB7_69
.LBB7_66:
	v_mov_b32_e32 v3, 0
	v_mov_b32_e32 v5, 0
	;; [unrolled: 1-line block ×3, first 2 shown]
	s_and_b32 s4, s25, 3
	s_cmp_eq_u32 s4, 0
	s_cbranch_scc1 .LBB7_69
.LBB7_67:
	s_lshl_b32 s0, s24, 3
	s_add_u32 s0, s34, s0
	s_addc_u32 s1, s35, 0
	s_add_u32 s0, s0, 0xc4
	s_addc_u32 s1, s1, 0
	s_mul_i32 s2, s24, 12
	s_add_u32 s2, s34, s2
	s_addc_u32 s3, s35, 0
.LBB7_68:                               ; =>This Inner Loop Header: Depth=1
	s_load_dwordx2 s[6:7], s[2:3], 0x4
	s_load_dword s5, s[2:3], 0xc
	s_load_dwordx2 s[8:9], s[0:1], 0x0
	s_add_u32 s2, s2, 12
	s_addc_u32 s3, s3, 0
	s_waitcnt lgkmcnt(0)
	v_mul_hi_u32 v6, s7, v4
	s_add_u32 s0, s0, 8
	s_addc_u32 s1, s1, 0
	s_add_i32 s4, s4, -1
	v_add_u32_e32 v6, v4, v6
	v_lshrrev_b32_e32 v8, s5, v6
	v_mul_lo_u32 v6, v8, s6
	s_cmp_lg_u32 s4, 0
	v_sub_u32_e32 v6, v4, v6
	v_mad_u64_u32 v[3:4], s[6:7], v6, s8, v[3:4]
	v_mad_u64_u32 v[5:6], s[6:7], v6, s9, v[5:6]
	v_mov_b32_e32 v4, v8
	s_cbranch_scc1 .LBB7_68
.LBB7_69:
	s_cbranch_execnz .LBB7_72
.LBB7_70:
	s_load_dwordx4 s[0:3], s[34:35], 0x4
	s_load_dwordx2 s[4:5], s[34:35], 0xc4
	s_cmp_lt_u32 s33, 2
	s_waitcnt lgkmcnt(0)
	v_mul_hi_u32 v3, s1, v9
	v_add_u32_e32 v3, v9, v3
	v_lshrrev_b32_e32 v4, s2, v3
	v_mul_lo_u32 v3, v4, s0
	v_sub_u32_e32 v5, v9, v3
	v_mul_lo_u32 v3, v5, s4
	v_mul_lo_u32 v5, v5, s5
	s_cbranch_scc1 .LBB7_72
; %bb.71:
	s_load_dwordx4 s[0:3], s[34:35], 0x10
	s_load_dwordx2 s[4:5], s[34:35], 0xcc
	s_waitcnt lgkmcnt(0)
	v_mul_hi_u32 v6, s1, v4
	v_add_u32_e32 v6, v4, v6
	v_lshrrev_b32_e32 v6, s2, v6
	v_mul_lo_u32 v6, v6, s0
	v_sub_u32_e32 v6, v4, v6
	v_mad_u64_u32 v[3:4], s[0:1], v6, s4, v[3:4]
	v_mad_u64_u32 v[5:6], s[0:1], v6, s5, v[5:6]
.LBB7_72:
	s_load_dwordx4 s[4:7], s[34:35], 0x148
	v_mov_b32_e32 v8, 0
	v_mov_b32_e32 v9, 0x7ff00000
	s_waitcnt lgkmcnt(0)
	global_load_dwordx2 v[13:14], v7, s[6:7]
	v_mov_b32_e32 v6, 0
	v_mov_b32_e32 v7, 0x7ff00000
	s_waitcnt vmcnt(0)
	v_cmp_neq_f64_e32 vcc, 0, v[13:14]
	s_and_saveexec_b64 s[2:3], vcc
	s_cbranch_execz .LBB7_80
; %bb.73:
	v_cmp_ngt_f64_e32 vcc, 0, v[13:14]
	v_mov_b32_e32 v6, 0
	v_mov_b32_e32 v7, 0x7ff80000
	s_and_saveexec_b64 s[8:9], vcc
	s_cbranch_execz .LBB7_79
; %bb.74:
	v_cmp_ge_f64_e32 vcc, 2.0, v[13:14]
                                        ; implicit-def: $vgpr6_vgpr7
	s_and_saveexec_b64 s[0:1], vcc
	s_xor_b64 s[10:11], exec, s[0:1]
	s_cbranch_execz .LBB7_76
; %bb.75:
	v_fma_f64 v[6:7], v[13:14], 0.5, -2.0
	v_mov_b32_e32 v15, 0x977da589
	v_mov_b32_e32 v16, 0x3c833362
	s_mov_b32 s1, 0xbc545cb7
	s_mov_b32 s0, 0x2134d0ef
	;; [unrolled: 1-line block ×5, first 2 shown]
	v_fma_f64 v[15:16], v[6:7], s[0:1], v[15:16]
	s_mov_b32 s1, 0x3c545cb7
	s_mov_b32 s15, 0xbf0e2b26
	;; [unrolled: 1-line block ×7, first 2 shown]
	v_fma_f64 v[17:18], v[6:7], v[15:16], s[0:1]
	s_mov_b32 s0, 0x721ebbb4
	s_mov_b32 s1, 0xbcb184eb
	;; [unrolled: 1-line block ×7, first 2 shown]
	v_add_f64 v[17:18], v[17:18], s[0:1]
	s_mov_b32 s0, 0x93f65eba
	s_mov_b32 s1, 0x3cdee6d8
	;; [unrolled: 1-line block ×7, first 2 shown]
	v_fma_f64 v[15:16], v[6:7], v[17:18], -v[15:16]
	s_mov_b32 s20, 0x3b39803f
	s_mov_b32 s26, 0x67e58a13
	;; [unrolled: 1-line block ×5, first 2 shown]
	v_mov_b32_e32 v11, 0xfff00000
	v_add_f64 v[15:16], v[15:16], s[0:1]
	s_mov_b32 s0, 0xc297fbeb
	s_mov_b32 s1, 0xbd0a5022
	v_fma_f64 v[17:18], v[6:7], v[15:16], -v[17:18]
	v_add_f64 v[17:18], v[17:18], s[0:1]
	s_mov_b32 s0, 0x4b262627
	s_mov_b32 s1, 0x3d359b46
	v_fma_f64 v[15:16], v[6:7], v[17:18], -v[15:16]
	;; [unrolled: 4-line block ×4, first 2 shown]
	v_add_f64 v[19:20], v[15:16], s[0:1]
	v_mul_f64 v[15:16], v[13:14], 0.5
	s_mov_b32 s0, 0x7a946abc
	s_mov_b32 s1, 0xbdb2fc95
	v_fma_f64 v[17:18], v[6:7], v[19:20], -v[17:18]
	v_frexp_mant_f64_e32 v[21:22], v[15:16]
	v_add_f64 v[17:18], v[17:18], s[0:1]
	v_cmp_gt_f64_e32 vcc, s[12:13], v[21:22]
	s_mov_b32 s0, 0xcc743c10
	s_mov_b32 s1, 0x3dda98be
	;; [unrolled: 1-line block ×3, first 2 shown]
	v_fma_f64 v[19:20], v[6:7], v[17:18], -v[19:20]
	v_cndmask_b32_e64 v4, 0, 1, vcc
	v_ldexp_f64 v[21:22], v[21:22], v4
	v_frexp_exp_i32_f64_e32 v4, v[15:16]
	v_add_f64 v[19:20], v[19:20], s[0:1]
	s_mov_b32 s0, 0x13ae9556
	v_add_f64 v[23:24], v[21:22], 1.0
	s_mov_b32 s1, 0xbe01d4fe
	v_add_f64 v[29:30], v[21:22], -1.0
	v_subbrev_co_u32_e32 v4, vcc, 0, v4, vcc
	v_cvt_f64_i32_e32 v[39:40], v4
	v_fma_f64 v[17:18], v[6:7], v[19:20], -v[17:18]
	v_rcp_f64_e32 v[25:26], v[23:24]
	v_add_f64 v[31:32], v[23:24], -1.0
	v_mul_f64 v[41:42], v[39:40], s[24:25]
	v_add_f64 v[17:18], v[17:18], s[0:1]
	s_mov_b32 s0, 0xa454cb34
	s_mov_b32 s1, 0x3e26d903
	v_add_f64 v[21:22], v[21:22], -v[31:32]
	v_fma_f64 v[19:20], v[6:7], v[17:18], -v[19:20]
	v_fma_f64 v[27:28], -v[23:24], v[25:26], 1.0
	v_fma_f64 v[25:26], v[27:28], v[25:26], v[25:26]
	v_add_f64 v[27:28], v[19:20], s[0:1]
	s_mov_b32 s0, 0x8c0b30ab
	s_mov_b32 s1, 0xbe4beaf6
	v_fma_f64 v[19:20], -v[23:24], v[25:26], 1.0
	v_fma_f64 v[17:18], v[6:7], v[27:28], -v[17:18]
	v_fma_f64 v[25:26], v[19:20], v[25:26], v[25:26]
	v_add_f64 v[17:18], v[17:18], s[0:1]
	s_mov_b32 s0, 0x9d4d6435
	s_mov_b32 s1, 0x3e703b76
	v_mul_f64 v[19:20], v[29:30], v[25:26]
	v_fma_f64 v[27:28], v[6:7], v[17:18], -v[27:28]
	v_mul_f64 v[33:34], v[23:24], v[19:20]
	v_add_f64 v[27:28], v[27:28], s[0:1]
	s_mov_b32 s0, 0x8f227f8d
	s_mov_b32 s1, 0xbe91ec63
	v_fma_f64 v[23:24], v[19:20], v[23:24], -v[33:34]
	v_fma_f64 v[17:18], v[6:7], v[27:28], -v[17:18]
	v_fma_f64 v[21:22], v[19:20], v[21:22], v[23:24]
	v_add_f64 v[17:18], v[17:18], s[0:1]
	s_mov_b32 s0, 0x978cf4ac
	s_mov_b32 s1, 0x3eb2bf24
	v_add_f64 v[23:24], v[33:34], v[21:22]
	v_fma_f64 v[27:28], v[6:7], v[17:18], -v[27:28]
	v_add_f64 v[31:32], v[29:30], -v[23:24]
	v_add_f64 v[27:28], v[27:28], s[0:1]
	v_add_f64 v[33:34], v[23:24], -v[33:34]
	s_mov_b32 s0, 0xcba56427
	s_mov_b32 s1, 0xbed2866f
	v_add_f64 v[29:30], v[29:30], -v[31:32]
	v_fma_f64 v[17:18], v[6:7], v[27:28], -v[17:18]
	v_add_f64 v[21:22], v[33:34], -v[21:22]
	v_mov_b32_e32 v33, 0xc384c2aa
	v_mov_b32_e32 v34, 0x3d27fb0a
	v_add_f64 v[23:24], v[29:30], -v[23:24]
	v_add_f64 v[17:18], v[17:18], s[0:1]
	s_mov_b32 s0, 0xbe9a2859
	s_mov_b32 s1, 0x3ef13f58
	v_add_f64 v[21:22], v[21:22], v[23:24]
	v_fma_f64 v[23:24], v[6:7], v[17:18], -v[27:28]
	v_add_f64 v[21:22], v[31:32], v[21:22]
	v_add_f64 v[23:24], v[23:24], s[0:1]
	s_mov_b32 s0, 0xbf559e2b
	s_mov_b32 s1, 0x3fc3ab76
	v_mul_f64 v[21:22], v[25:26], v[21:22]
	v_fma_f64 v[17:18], v[6:7], v[23:24], -v[17:18]
	v_mov_b32_e32 v25, 0x6b47b09a
	v_mov_b32_e32 v26, 0x3fc38538
	v_add_f64 v[27:28], v[19:20], v[21:22]
	v_add_f64 v[29:30], v[17:18], s[14:15]
	s_mov_b32 s14, 0xd7f4df2e
	s_mov_b32 s15, 0x3fc7474d
	v_mul_f64 v[31:32], v[27:28], v[27:28]
	v_fma_f64 v[17:18], v[6:7], v[29:30], -v[23:24]
	v_add_f64 v[19:20], v[27:28], -v[19:20]
	v_fma_f64 v[23:24], v[31:32], s[0:1], v[25:26]
	s_mov_b32 s0, 0x74107cab
	s_mov_b32 s1, 0x3f28b51b
	v_add_f64 v[25:26], v[17:18], s[0:1]
	s_mov_b32 s0, 0x1f15eb52
	s_mov_b32 s1, 0xbf42e2fd
	v_fma_f64 v[17:18], v[13:14], v[13:14], -2.0
	v_mul_f64 v[35:36], v[27:28], v[31:32]
	v_fma_f64 v[23:24], v[31:32], v[23:24], s[14:15]
	v_add_f64 v[21:22], v[21:22], -v[19:20]
	s_mov_b32 s14, 0x554a9085
	v_fma_f64 v[29:30], v[6:7], v[25:26], -v[29:30]
	s_mov_b32 s15, 0x3fa26bf6
	v_fma_f64 v[23:24], v[31:32], v[23:24], s[16:17]
	v_ldexp_f64 v[21:22], v[21:22], 1
	s_mov_b32 s16, 0x75633d73
	v_add_f64 v[29:30], v[29:30], s[0:1]
	s_mov_b32 s17, 0x3f54b82e
	s_mov_b32 s0, 0x81213db9
	;; [unrolled: 1-line block ×3, first 2 shown]
	v_fma_f64 v[23:24], v[31:32], v[23:24], s[18:19]
	s_mov_b32 s18, 0xfe8cfca0
	s_mov_b32 s19, 0x3ef7f900
	v_fma_f64 v[25:26], v[6:7], v[29:30], -v[25:26]
	v_fma_f64 v[23:24], v[31:32], v[23:24], s[28:29]
	s_mov_b32 s28, 0x8a12100e
	s_mov_b32 s29, 0x3f5adc75
	v_add_f64 v[25:26], v[25:26], s[28:29]
	s_mov_b32 s28, 0x201aa849
	s_mov_b32 s29, 0xbf71b65e
	v_fma_f64 v[23:24], v[31:32], v[23:24], s[12:13]
	v_fma_f64 v[31:32], v[17:18], s[30:31], v[33:34]
	v_ldexp_f64 v[33:34], v[27:28], 1
	v_fma_f64 v[29:30], v[6:7], v[25:26], -v[29:30]
	s_mov_b32 s31, 0xbca3cee1
	s_mov_b32 s12, 0xf3dde3dd
	;; [unrolled: 1-line block ×3, first 2 shown]
	v_mul_f64 v[23:24], v[35:36], v[23:24]
	v_mul_f64 v[35:36], v[13:14], s[36:37]
	v_fma_f64 v[37:38], v[17:18], v[31:32], s[30:31]
	v_add_f64 v[29:30], v[29:30], s[28:29]
	s_mov_b32 s28, 0xf121b6f0
	s_mov_b32 s29, 0xbf984e9e
	v_add_f64 v[27:28], v[33:34], v[23:24]
	v_rndne_f64_e32 v[19:20], v[35:36]
	v_add_f64 v[37:38], v[37:38], s[34:35]
	v_fma_f64 v[25:26], v[6:7], v[29:30], -v[25:26]
	v_fma_f64 v[35:36], v[39:40], s[24:25], -v[41:42]
	s_mov_b32 s25, 0xbfe62e42
	v_add_f64 v[33:34], v[27:28], -v[33:34]
	v_fma_f64 v[13:14], v[19:20], s[24:25], v[13:14]
	v_fma_f64 v[31:32], v[17:18], v[37:38], -v[31:32]
	v_add_f64 v[25:26], v[25:26], s[12:13]
	v_fma_f64 v[35:36], v[39:40], s[20:21], v[35:36]
	s_mov_b32 s21, 0xbc7abc9e
	s_mov_b32 s12, 0xcea8a32d
	;; [unrolled: 1-line block ×3, first 2 shown]
	v_add_f64 v[23:24], v[23:24], -v[33:34]
	v_fma_f64 v[13:14], v[19:20], s[20:21], v[13:14]
	v_add_f64 v[31:32], v[31:32], s[26:27]
	v_fma_f64 v[29:30], v[6:7], v[25:26], -v[29:30]
	s_mov_b32 s20, 0x6a5dcb37
	v_mov_b32_e32 v33, 0xfca7ab0c
	v_mov_b32_e32 v34, 0x3e928af3
	s_mov_b32 s21, 0x3e5ade15
	v_add_f64 v[21:22], v[21:22], v[23:24]
	v_fma_f64 v[33:34], v[13:14], s[20:21], v[33:34]
	v_fma_f64 v[37:38], v[17:18], v[31:32], -v[37:38]
	v_add_f64 v[23:24], v[29:30], s[28:29]
	v_add_f64 v[29:30], v[41:42], v[35:36]
	s_mov_b32 s13, 0x3fa93e8a
	s_mov_b32 s25, 0x3ec71dee
	;; [unrolled: 1-line block ×3, first 2 shown]
	v_add_f64 v[39:40], v[27:28], v[21:22]
	v_fma_f64 v[33:34], v[13:14], v[33:34], s[24:25]
	v_add_f64 v[37:38], v[37:38], s[22:23]
	v_fma_f64 v[25:26], v[6:7], v[23:24], -v[25:26]
	s_mov_b32 s22, 0x7c89e6b0
	s_mov_b32 s23, 0x3efa0199
	;; [unrolled: 1-line block ×4, first 2 shown]
	v_add_f64 v[43:44], v[29:30], v[39:40]
	v_fma_f64 v[33:34], v[13:14], v[33:34], s[22:23]
	v_fma_f64 v[31:32], v[17:18], v[37:38], -v[31:32]
	v_add_f64 v[25:26], v[25:26], s[12:13]
	s_mov_b32 s25, 0x3f2a01a0
	v_add_f64 v[41:42], v[29:30], -v[41:42]
	v_add_f64 v[27:28], v[39:40], -v[27:28]
	s_mov_b32 s22, 0x1852b7b0
	v_add_f64 v[45:46], v[43:44], -v[29:30]
	v_fma_f64 v[33:34], v[13:14], v[33:34], s[24:25]
	v_add_f64 v[31:32], v[31:32], s[18:19]
	v_fma_f64 v[23:24], v[6:7], v[25:26], -v[23:24]
	s_mov_b32 s23, 0x3f56c16c
	v_add_f64 v[35:36], v[35:36], -v[41:42]
	v_add_f64 v[21:22], v[21:22], -v[27:28]
	s_mov_b32 s12, 0x77ac88c0
	v_add_f64 v[47:48], v[43:44], -v[45:46]
	v_add_f64 v[27:28], v[39:40], -v[45:46]
	v_fma_f64 v[37:38], v[17:18], v[31:32], -v[37:38]
	v_add_f64 v[23:24], v[23:24], s[20:21]
	v_fma_f64 v[33:34], v[13:14], v[33:34], s[22:23]
	s_mov_b32 s18, 0x11122322
	s_mov_b32 s13, 0x3fc5f7ac
	;; [unrolled: 1-line block ×3, first 2 shown]
	v_add_f64 v[29:30], v[29:30], -v[47:48]
	v_add_f64 v[39:40], v[35:36], v[21:22]
	v_cvt_i32_f64_e32 v4, v[19:20]
	v_fma_f64 v[25:26], v[6:7], v[23:24], -v[25:26]
	v_fma_f64 v[33:34], v[13:14], v[33:34], s[18:19]
	v_add_f64 v[27:28], v[27:28], v[29:30]
	v_add_f64 v[29:30], v[37:38], s[16:17]
	s_mov_b32 s16, 0x555502a1
	v_add_f64 v[25:26], v[25:26], s[12:13]
	s_mov_b32 s17, 0x3fa55555
	v_fma_f64 v[33:34], v[13:14], v[33:34], s[16:17]
	s_mov_b32 s12, 0xc057cd8d
	v_add_f64 v[37:38], v[39:40], -v[35:36]
	v_add_f64 v[27:28], v[39:40], v[27:28]
	v_fma_f64 v[31:32], v[17:18], v[29:30], -v[31:32]
	s_mov_b32 s16, 0x55555511
	v_fma_f64 v[23:24], v[6:7], v[25:26], -v[23:24]
	s_mov_b32 s13, 0xbfd37feb
	s_mov_b32 s17, 0x3fc55555
	v_fma_f64 v[33:34], v[13:14], v[33:34], s[16:17]
	v_add_f64 v[39:40], v[39:40], -v[37:38]
	v_add_f64 v[41:42], v[43:44], v[27:28]
	v_add_f64 v[31:32], v[31:32], s[14:15]
	v_add_f64 v[21:22], v[21:22], -v[37:38]
	v_add_f64 v[23:24], v[23:24], s[12:13]
	s_mov_b32 s12, 11
	s_mov_b32 s13, 0x3fe00000
	v_fma_f64 v[33:34], v[13:14], v[33:34], s[12:13]
	v_add_f64 v[35:36], v[35:36], -v[39:40]
	v_add_f64 v[37:38], v[41:42], -v[43:44]
	v_fma_f64 v[29:30], v[17:18], v[31:32], -v[29:30]
	s_mov_b32 s12, 0x9035a22a
	v_fma_f64 v[6:7], v[6:7], v[23:24], -v[25:26]
	s_mov_b32 s13, 0x3fe5a84e
	v_add_f64 v[21:22], v[21:22], v[35:36]
	v_add_f64 v[23:24], v[27:28], -v[37:38]
	v_add_f64 v[27:28], v[29:30], s[0:1]
	v_fma_f64 v[29:30], v[13:14], v[33:34], 1.0
	v_add_f64 v[6:7], v[6:7], s[12:13]
	s_mov_b32 s0, 0xe9d2f61f
	s_mov_b32 s1, 0xbfe12166
	v_add_f64 v[21:22], v[21:22], v[23:24]
	v_fma_f64 v[17:18], v[17:18], v[27:28], -v[31:32]
	v_fma_f64 v[13:14], v[13:14], v[29:30], 1.0
	v_add_f64 v[6:7], v[6:7], -v[25:26]
	v_add_f64 v[19:20], v[41:42], v[21:22]
	v_add_f64 v[17:18], v[17:18], s[0:1]
	v_ldexp_f64 v[13:14], v[13:14], v4
	v_mul_f64 v[6:7], v[6:7], 0.5
	s_mov_b32 s0, 0
	s_mov_b32 s1, 0x7ff00000
	v_cmp_neq_f64_e32 vcc, s[0:1], v[15:16]
	v_cmp_neq_f64_e64 s[0:1], 0, v[15:16]
	v_mov_b32_e32 v4, 0x7ff00000
	v_add_f64 v[15:16], v[17:18], -v[31:32]
	v_mul_f64 v[6:7], v[13:14], v[6:7]
	v_cndmask_b32_e32 v4, v4, v20, vcc
	s_and_b64 vcc, s[0:1], vcc
	v_cndmask_b32_e64 v18, v11, v4, s[0:1]
	v_cndmask_b32_e32 v17, 0, v19, vcc
	v_mul_f64 v[6:7], v[17:18], v[6:7]
	v_fma_f64 v[6:7], v[15:16], 0.5, -v[6:7]
	v_mul_f64 v[6:7], v[13:14], v[6:7]
                                        ; implicit-def: $vgpr13_vgpr14
.LBB7_76:
	s_andn2_saveexec_b64 s[0:1], s[10:11]
	s_cbranch_execz .LBB7_78
; %bb.77:
	s_mov_b32 s10, 0
	s_mov_b32 s11, 0x40200000
	v_div_scale_f64 v[6:7], s[12:13], v[13:14], v[13:14], s[10:11]
	v_mov_b32_e32 v4, 0x100
	v_mov_b32_e32 v11, 0x260
	v_rcp_f64_e32 v[15:16], v[6:7]
	v_fma_f64 v[17:18], -v[6:7], v[15:16], 1.0
	v_fma_f64 v[15:16], v[15:16], v[17:18], v[15:16]
	v_div_scale_f64 v[17:18], vcc, s[10:11], v[13:14], s[10:11]
	v_fma_f64 v[19:20], -v[6:7], v[15:16], 1.0
	v_fma_f64 v[15:16], v[15:16], v[19:20], v[15:16]
	v_mul_f64 v[19:20], v[17:18], v[15:16]
	v_fma_f64 v[6:7], -v[6:7], v[19:20], v[17:18]
	v_div_fmas_f64 v[6:7], v[6:7], v[15:16], v[19:20]
	v_mov_b32_e32 v15, 0x93812603
	v_mov_b32_e32 v16, 0xbc72fecc
	v_div_fixup_f64 v[6:7], v[6:7], v[13:14], s[10:11]
	s_mov_b32 s11, 0x3c5871a5
	s_mov_b32 s10, 0xcf8c9ee1
	v_add_f64 v[6:7], v[6:7], -2.0
	v_fma_f64 v[15:16], v[6:7], s[10:11], v[15:16]
	s_mov_b32 s11, 0xbc5871a5
	v_fma_f64 v[17:18], v[6:7], v[15:16], s[10:11]
	s_mov_b32 s10, 0x41a8cdf4
	s_mov_b32 s11, 0x3c8e092e
	v_add_f64 v[17:18], v[17:18], s[10:11]
	s_mov_b32 s10, 0x74d77641
	s_mov_b32 s11, 0xbca82f94
	v_fma_f64 v[15:16], v[6:7], v[17:18], -v[15:16]
	v_add_f64 v[15:16], v[15:16], s[10:11]
	s_mov_b32 s10, 0x6b94785b
	s_mov_b32 s11, 0x3cc3dbf9
	v_fma_f64 v[17:18], v[6:7], v[15:16], -v[17:18]
	;; [unrolled: 4-line block ×17, first 2 shown]
	v_add_f64 v[15:16], v[15:16], s[10:11]
	s_mov_b32 s10, 0
	s_brev_b32 s11, 8
	v_cmp_gt_f64_e32 vcc, s[10:11], v[13:14]
	s_mov_b32 s10, 0xcc7470a9
	s_mov_b32 s11, 0x3eed413f
	v_fma_f64 v[17:18], v[6:7], v[15:16], -v[17:18]
	v_cndmask_b32_e32 v4, 0, v4, vcc
	v_ldexp_f64 v[13:14], v[13:14], v4
	v_mov_b32_e32 v4, 0xffffff80
	v_cndmask_b32_e32 v4, 0, v4, vcc
	v_add_f64 v[17:18], v[17:18], s[10:11]
	s_mov_b32 s10, 0xe7889f42
	s_mov_b32 s11, 0xbf20d797
	v_rsq_f64_e32 v[19:20], v[13:14]
	v_cmp_class_f64_e32 vcc, v[13:14], v11
	v_fma_f64 v[15:16], v[6:7], v[17:18], -v[15:16]
	v_add_f64 v[15:16], v[15:16], s[10:11]
	s_mov_b32 s10, 0xfca79342
	s_mov_b32 s11, 0x3f59b891
	v_mul_f64 v[21:22], v[13:14], v[19:20]
	v_mul_f64 v[19:20], v[19:20], 0.5
	v_fma_f64 v[17:18], v[6:7], v[15:16], -v[17:18]
	v_fma_f64 v[23:24], -v[19:20], v[21:22], 0.5
	v_add_f64 v[17:18], v[17:18], s[10:11]
	s_mov_b32 s10, 0x2d4ff71e
	s_mov_b32 s11, 0xbfa019f7
	v_fma_f64 v[21:22], v[21:22], v[23:24], v[21:22]
	v_fma_f64 v[19:20], v[19:20], v[23:24], v[19:20]
	v_fma_f64 v[15:16], v[6:7], v[17:18], -v[15:16]
	v_fma_f64 v[23:24], -v[21:22], v[21:22], v[13:14]
	v_add_f64 v[15:16], v[15:16], s[10:11]
	s_mov_b32 s10, 0x9f4e6907
	s_mov_b32 s11, 0x400385bd
	v_fma_f64 v[21:22], v[23:24], v[19:20], v[21:22]
	v_fma_f64 v[6:7], v[6:7], v[15:16], -v[17:18]
	v_fma_f64 v[15:16], -v[21:22], v[21:22], v[13:14]
	v_add_f64 v[6:7], v[6:7], s[10:11]
	v_fma_f64 v[15:16], v[15:16], v[19:20], v[21:22]
	v_add_f64 v[6:7], v[6:7], -v[17:18]
	v_ldexp_f64 v[15:16], v[15:16], v4
	v_mul_f64 v[6:7], v[6:7], 0.5
	v_cndmask_b32_e32 v14, v16, v14, vcc
	v_cndmask_b32_e32 v13, v15, v13, vcc
	v_div_scale_f64 v[15:16], s[10:11], v[13:14], v[13:14], v[6:7]
	v_div_scale_f64 v[21:22], vcc, v[6:7], v[13:14], v[6:7]
	v_rcp_f64_e32 v[17:18], v[15:16]
	v_fma_f64 v[19:20], -v[15:16], v[17:18], 1.0
	v_fma_f64 v[17:18], v[17:18], v[19:20], v[17:18]
	v_fma_f64 v[19:20], -v[15:16], v[17:18], 1.0
	v_fma_f64 v[17:18], v[17:18], v[19:20], v[17:18]
	v_mul_f64 v[19:20], v[21:22], v[17:18]
	v_fma_f64 v[15:16], -v[15:16], v[19:20], v[21:22]
	v_div_fmas_f64 v[15:16], v[15:16], v[17:18], v[19:20]
	v_div_fixup_f64 v[6:7], v[15:16], v[13:14], v[6:7]
.LBB7_78:
	s_or_b64 exec, exec, s[0:1]
.LBB7_79:
	s_or_b64 exec, exec, s[8:9]
.LBB7_80:
	s_or_b64 exec, exec, s[2:3]
	global_load_dwordx2 v[11:12], v12, s[6:7]
	s_waitcnt vmcnt(0)
	v_cmp_neq_f64_e32 vcc, 0, v[11:12]
	s_and_saveexec_b64 s[2:3], vcc
	s_cbranch_execz .LBB7_88
; %bb.81:
	v_cmp_ngt_f64_e32 vcc, 0, v[11:12]
	v_mov_b32_e32 v8, 0
	v_mov_b32_e32 v9, 0x7ff80000
	s_and_saveexec_b64 s[8:9], vcc
	s_cbranch_execz .LBB7_87
; %bb.82:
	v_cmp_ge_f64_e32 vcc, 2.0, v[11:12]
                                        ; implicit-def: $vgpr8_vgpr9
	s_and_saveexec_b64 s[0:1], vcc
	s_xor_b64 s[10:11], exec, s[0:1]
	s_cbranch_execz .LBB7_84
; %bb.83:
	v_fma_f64 v[8:9], v[11:12], 0.5, -2.0
	v_mov_b32_e32 v13, 0x977da589
	v_mov_b32_e32 v14, 0x3c833362
	s_mov_b32 s1, 0xbc545cb7
	s_mov_b32 s0, 0x2134d0ef
	;; [unrolled: 1-line block ×5, first 2 shown]
	v_fma_f64 v[13:14], v[8:9], s[0:1], v[13:14]
	s_mov_b32 s1, 0x3c545cb7
	s_mov_b32 s15, 0x3fc3ab76
	;; [unrolled: 1-line block ×7, first 2 shown]
	v_fma_f64 v[15:16], v[8:9], v[13:14], s[0:1]
	s_mov_b32 s0, 0x721ebbb4
	s_mov_b32 s1, 0xbcb184eb
	;; [unrolled: 1-line block ×7, first 2 shown]
	v_add_f64 v[15:16], v[15:16], s[0:1]
	s_mov_b32 s0, 0x93f65eba
	s_mov_b32 s1, 0x3cdee6d8
	;; [unrolled: 1-line block ×7, first 2 shown]
	v_fma_f64 v[13:14], v[8:9], v[15:16], -v[13:14]
	s_mov_b32 s31, 0xbf984e9e
	v_mov_b32_e32 v33, 0xfca7ab0c
	v_mov_b32_e32 v34, 0x3e928af3
	s_mov_b32 s34, 0xe7f95efc
	s_mov_b32 s35, 0x3e9102bc
	v_add_f64 v[13:14], v[13:14], s[0:1]
	s_mov_b32 s0, 0xc297fbeb
	s_mov_b32 s1, 0xbd0a5022
	v_fma_f64 v[15:16], v[8:9], v[13:14], -v[15:16]
	v_add_f64 v[15:16], v[15:16], s[0:1]
	s_mov_b32 s0, 0x4b262627
	s_mov_b32 s1, 0x3d359b46
	v_fma_f64 v[13:14], v[8:9], v[15:16], -v[13:14]
	;; [unrolled: 4-line block ×4, first 2 shown]
	v_add_f64 v[17:18], v[13:14], s[0:1]
	v_mul_f64 v[13:14], v[11:12], 0.5
	s_mov_b32 s1, 0x3fe55555
	s_mov_b32 s0, 0x55555555
	v_fma_f64 v[15:16], v[8:9], v[17:18], -v[15:16]
	v_frexp_mant_f64_e32 v[19:20], v[13:14]
	v_add_f64 v[15:16], v[15:16], s[12:13]
	v_cmp_gt_f64_e32 vcc, s[0:1], v[19:20]
	s_mov_b32 s12, 0xcc743c10
	s_mov_b32 s13, 0x3dda98be
	;; [unrolled: 1-line block ×3, first 2 shown]
	v_fma_f64 v[17:18], v[8:9], v[15:16], -v[17:18]
	v_cndmask_b32_e64 v4, 0, 1, vcc
	v_ldexp_f64 v[19:20], v[19:20], v4
	v_frexp_exp_i32_f64_e32 v4, v[13:14]
	v_add_f64 v[17:18], v[17:18], s[12:13]
	s_mov_b32 s12, 0x13ae9556
	v_add_f64 v[21:22], v[19:20], 1.0
	s_mov_b32 s13, 0xbe01d4fe
	v_add_f64 v[27:28], v[19:20], -1.0
	v_subbrev_co_u32_e32 v4, vcc, 0, v4, vcc
	v_cvt_f64_i32_e32 v[39:40], v4
	v_fma_f64 v[15:16], v[8:9], v[17:18], -v[15:16]
	v_rcp_f64_e32 v[23:24], v[21:22]
	v_add_f64 v[29:30], v[21:22], -1.0
	v_add_f64 v[15:16], v[15:16], s[12:13]
	s_mov_b32 s12, 0xa454cb34
	s_mov_b32 s13, 0x3e26d903
	v_add_f64 v[19:20], v[19:20], -v[29:30]
	v_fma_f64 v[17:18], v[8:9], v[15:16], -v[17:18]
	v_fma_f64 v[25:26], -v[21:22], v[23:24], 1.0
	v_fma_f64 v[23:24], v[25:26], v[23:24], v[23:24]
	v_add_f64 v[25:26], v[17:18], s[12:13]
	s_mov_b32 s12, 0x8c0b30ab
	s_mov_b32 s13, 0xbe4beaf6
	v_fma_f64 v[17:18], -v[21:22], v[23:24], 1.0
	v_fma_f64 v[15:16], v[8:9], v[25:26], -v[15:16]
	v_fma_f64 v[23:24], v[17:18], v[23:24], v[23:24]
	v_add_f64 v[15:16], v[15:16], s[12:13]
	s_mov_b32 s12, 0x9d4d6435
	s_mov_b32 s13, 0x3e703b76
	v_mul_f64 v[17:18], v[27:28], v[23:24]
	v_fma_f64 v[25:26], v[8:9], v[15:16], -v[25:26]
	v_mul_f64 v[31:32], v[21:22], v[17:18]
	v_add_f64 v[25:26], v[25:26], s[12:13]
	s_mov_b32 s12, 0x8f227f8d
	s_mov_b32 s13, 0xbe91ec63
	v_fma_f64 v[21:22], v[17:18], v[21:22], -v[31:32]
	v_fma_f64 v[15:16], v[8:9], v[25:26], -v[15:16]
	v_fma_f64 v[19:20], v[17:18], v[19:20], v[21:22]
	v_add_f64 v[15:16], v[15:16], s[12:13]
	s_mov_b32 s12, 0x978cf4ac
	s_mov_b32 s13, 0x3eb2bf24
	v_add_f64 v[21:22], v[31:32], v[19:20]
	v_fma_f64 v[25:26], v[8:9], v[15:16], -v[25:26]
	v_add_f64 v[29:30], v[27:28], -v[21:22]
	v_add_f64 v[25:26], v[25:26], s[12:13]
	v_add_f64 v[31:32], v[21:22], -v[31:32]
	s_mov_b32 s12, 0xcba56427
	s_mov_b32 s13, 0xbed2866f
	v_add_f64 v[27:28], v[27:28], -v[29:30]
	v_fma_f64 v[15:16], v[8:9], v[25:26], -v[15:16]
	v_add_f64 v[19:20], v[31:32], -v[19:20]
	v_mov_b32_e32 v31, 0xc384c2aa
	v_mov_b32_e32 v32, 0x3d27fb0a
	v_add_f64 v[21:22], v[27:28], -v[21:22]
	v_add_f64 v[15:16], v[15:16], s[12:13]
	s_mov_b32 s12, 0xbe9a2859
	s_mov_b32 s13, 0x3ef13f58
	v_add_f64 v[19:20], v[19:20], v[21:22]
	v_fma_f64 v[21:22], v[8:9], v[15:16], -v[25:26]
	v_add_f64 v[19:20], v[29:30], v[19:20]
	v_add_f64 v[25:26], v[21:22], s[12:13]
	s_mov_b32 s12, 0x59c41d5a
	s_mov_b32 s13, 0xbf0e2b26
	v_mul_f64 v[19:20], v[23:24], v[19:20]
	v_fma_f64 v[15:16], v[8:9], v[25:26], -v[15:16]
	v_mov_b32_e32 v23, 0x6b47b09a
	v_mov_b32_e32 v24, 0x3fc38538
	v_add_f64 v[21:22], v[17:18], v[19:20]
	v_add_f64 v[15:16], v[15:16], s[12:13]
	s_mov_b32 s13, 0x3fe62e42
	s_mov_b32 s12, 0xfefa39ef
	v_mul_f64 v[41:42], v[39:40], s[12:13]
	v_mul_f64 v[27:28], v[21:22], v[21:22]
	v_fma_f64 v[25:26], v[8:9], v[15:16], -v[25:26]
	v_add_f64 v[17:18], v[21:22], -v[17:18]
	v_fma_f64 v[23:24], v[27:28], s[14:15], v[23:24]
	s_mov_b32 s14, 0x74107cab
	s_mov_b32 s15, 0x3f28b51b
	v_add_f64 v[25:26], v[25:26], s[14:15]
	v_mul_f64 v[35:36], v[21:22], v[27:28]
	v_add_f64 v[19:20], v[19:20], -v[17:18]
	s_mov_b32 s15, 0x3c7abc9e
	s_mov_b32 s14, 0x3b39803f
	v_fma_f64 v[23:24], v[27:28], v[23:24], s[16:17]
	s_mov_b32 s16, 0x8a12100e
	s_mov_b32 s17, 0x3f5adc75
	v_fma_f64 v[29:30], v[8:9], v[25:26], -v[15:16]
	v_fma_f64 v[15:16], v[11:12], v[11:12], -2.0
	v_ldexp_f64 v[19:20], v[19:20], 1
	v_fma_f64 v[23:24], v[27:28], v[23:24], s[18:19]
	s_mov_b32 s19, 0x3ca3cee1
	s_mov_b32 s18, 0xe6a7fd77
	v_add_f64 v[29:30], v[29:30], s[24:25]
	s_mov_b32 s24, 0x652b82fe
	s_mov_b32 s25, 0x3ff71547
	v_fma_f64 v[23:24], v[27:28], v[23:24], s[20:21]
	s_mov_b32 s20, 0xf3dde3dd
	s_mov_b32 s21, 0x3f859961
	v_fma_f64 v[25:26], v[8:9], v[29:30], -v[25:26]
	v_fma_f64 v[23:24], v[27:28], v[23:24], s[22:23]
	s_mov_b32 s22, 0x67e58a13
	s_mov_b32 s23, 0x3e205c13
	v_add_f64 v[25:26], v[25:26], s[16:17]
	s_mov_b32 s16, 0xcea8a32d
	s_mov_b32 s17, 0x3fa93e8a
	v_fma_f64 v[23:24], v[27:28], v[23:24], s[0:1]
	s_mov_b32 s0, 0x6a5dcb37
	s_mov_b32 s1, 0x3e5ade15
	v_fma_f64 v[27:28], v[8:9], v[25:26], -v[29:30]
	v_fma_f64 v[29:30], v[15:16], s[18:19], v[31:32]
	v_ldexp_f64 v[31:32], v[21:22], 1
	s_mov_b32 s19, 0xbca3cee1
	v_mul_f64 v[23:24], v[35:36], v[23:24]
	v_mul_f64 v[35:36], v[11:12], s[24:25]
	v_add_f64 v[27:28], v[27:28], s[26:27]
	v_fma_f64 v[37:38], v[15:16], v[29:30], s[18:19]
	s_mov_b32 s18, 0x623fde64
	s_mov_b32 s19, 0x3ec71dee
	v_add_f64 v[21:22], v[31:32], v[23:24]
	v_rndne_f64_e32 v[17:18], v[35:36]
	v_fma_f64 v[35:36], v[39:40], s[12:13], -v[41:42]
	v_fma_f64 v[25:26], v[8:9], v[27:28], -v[25:26]
	v_add_f64 v[37:38], v[37:38], s[28:29]
	s_mov_b32 s13, 0xbfe62e42
	v_add_f64 v[31:32], v[21:22], -v[31:32]
	v_fma_f64 v[11:12], v[17:18], s[12:13], v[11:12]
	s_mov_b32 s12, 0x7c89e6b0
	v_add_f64 v[25:26], v[25:26], s[20:21]
	v_fma_f64 v[29:30], v[15:16], v[37:38], -v[29:30]
	s_mov_b32 s13, 0x3efa0199
	s_mov_b32 s20, 0x342d06ea
	;; [unrolled: 1-line block ×3, first 2 shown]
	v_add_f64 v[23:24], v[23:24], -v[31:32]
	v_fma_f64 v[31:32], v[39:40], s[14:15], v[35:36]
	s_mov_b32 s15, 0xbc7abc9e
	v_fma_f64 v[27:28], v[8:9], v[25:26], -v[27:28]
	v_add_f64 v[29:30], v[29:30], s[22:23]
	v_fma_f64 v[11:12], v[17:18], s[14:15], v[11:12]
	s_mov_b32 s14, 0xfe8cfca0
	s_mov_b32 s15, 0x3ef7f900
	v_add_f64 v[19:20], v[19:20], v[23:24]
	s_mov_b32 s22, 0x1852b7b0
	s_mov_b32 s23, 0x3f56c16c
	v_add_f64 v[23:24], v[27:28], s[30:31]
	v_add_f64 v[27:28], v[41:42], v[31:32]
	v_fma_f64 v[37:38], v[15:16], v[29:30], -v[37:38]
	v_fma_f64 v[33:34], v[11:12], s[0:1], v[33:34]
	s_mov_b32 s0, 0x14761f6e
	v_add_f64 v[35:36], v[21:22], v[19:20]
	s_mov_b32 s1, 0x3f2a01a0
	v_cvt_i32_f64_e32 v4, v[17:18]
	v_fma_f64 v[25:26], v[8:9], v[23:24], -v[25:26]
	v_add_f64 v[41:42], v[27:28], -v[41:42]
	v_add_f64 v[37:38], v[37:38], s[34:35]
	v_fma_f64 v[33:34], v[11:12], v[33:34], s[18:19]
	s_mov_b32 s18, 0x75633d73
	v_add_f64 v[39:40], v[27:28], v[35:36]
	v_add_f64 v[21:22], v[35:36], -v[21:22]
	s_mov_b32 s19, 0x3f54b82e
	v_add_f64 v[25:26], v[25:26], s[16:17]
	s_mov_b32 s16, 0x77ac88c0
	v_fma_f64 v[29:30], v[15:16], v[37:38], -v[29:30]
	v_fma_f64 v[33:34], v[11:12], v[33:34], s[12:13]
	s_mov_b32 s12, 0x11122322
	v_add_f64 v[43:44], v[39:40], -v[27:28]
	v_add_f64 v[19:20], v[19:20], -v[21:22]
	;; [unrolled: 1-line block ×3, first 2 shown]
	v_fma_f64 v[23:24], v[8:9], v[25:26], -v[23:24]
	s_mov_b32 s17, 0x3fc5f7ac
	v_add_f64 v[29:30], v[29:30], s[14:15]
	v_fma_f64 v[33:34], v[11:12], v[33:34], s[0:1]
	s_mov_b32 s13, 0x3f811111
	v_add_f64 v[45:46], v[39:40], -v[43:44]
	v_add_f64 v[21:22], v[35:36], -v[43:44]
	s_mov_b32 s0, 0x555502a1
	v_add_f64 v[23:24], v[23:24], s[20:21]
	s_mov_b32 s1, 0x3fa55555
	v_fma_f64 v[35:36], v[15:16], v[29:30], -v[37:38]
	v_fma_f64 v[33:34], v[11:12], v[33:34], s[22:23]
	v_add_f64 v[37:38], v[31:32], v[19:20]
	v_add_f64 v[27:28], v[27:28], -v[45:46]
	s_mov_b32 s14, 0xc057cd8d
	s_mov_b32 s15, 0xbfd37feb
	v_fma_f64 v[25:26], v[8:9], v[23:24], -v[25:26]
	v_fma_f64 v[33:34], v[11:12], v[33:34], s[12:13]
	s_mov_b32 s12, 0x554a9085
	v_add_f64 v[21:22], v[21:22], v[27:28]
	v_add_f64 v[27:28], v[35:36], s[18:19]
	v_add_f64 v[35:36], v[37:38], -v[31:32]
	v_add_f64 v[25:26], v[25:26], s[16:17]
	s_mov_b32 s13, 0x3fa26bf6
	s_mov_b32 s16, 11
	v_fma_f64 v[33:34], v[11:12], v[33:34], s[0:1]
	s_mov_b32 s0, 0x55555511
	v_add_f64 v[21:22], v[37:38], v[21:22]
	v_fma_f64 v[29:30], v[15:16], v[27:28], -v[29:30]
	s_mov_b32 s1, 0x3fc55555
	v_fma_f64 v[23:24], v[8:9], v[25:26], -v[23:24]
	v_add_f64 v[37:38], v[37:38], -v[35:36]
	s_mov_b32 s17, 0x3fe00000
	v_fma_f64 v[33:34], v[11:12], v[33:34], s[0:1]
	s_mov_b32 s0, 0x81213db9
	v_add_f64 v[41:42], v[39:40], v[21:22]
	v_add_f64 v[29:30], v[29:30], s[12:13]
	v_add_f64 v[19:20], v[19:20], -v[35:36]
	v_add_f64 v[23:24], v[23:24], s[14:15]
	v_add_f64 v[31:32], v[31:32], -v[37:38]
	s_mov_b32 s12, 0x9035a22a
	v_fma_f64 v[33:34], v[11:12], v[33:34], s[16:17]
	s_mov_b32 s1, 0x3fd608d8
	v_add_f64 v[35:36], v[41:42], -v[39:40]
	v_fma_f64 v[27:28], v[15:16], v[29:30], -v[27:28]
	s_mov_b32 s13, 0x3fe5a84e
	v_fma_f64 v[8:9], v[8:9], v[23:24], -v[25:26]
	v_add_f64 v[19:20], v[19:20], v[31:32]
	v_add_f64 v[21:22], v[21:22], -v[35:36]
	v_add_f64 v[23:24], v[27:28], s[0:1]
	v_fma_f64 v[27:28], v[11:12], v[33:34], 1.0
	v_add_f64 v[8:9], v[8:9], s[12:13]
	s_mov_b32 s0, 0xe9d2f61f
	s_mov_b32 s1, 0xbfe12166
	v_add_f64 v[19:20], v[19:20], v[21:22]
	v_fma_f64 v[15:16], v[15:16], v[23:24], -v[29:30]
	v_fma_f64 v[11:12], v[11:12], v[27:28], 1.0
	v_add_f64 v[8:9], v[8:9], -v[25:26]
	v_add_f64 v[17:18], v[41:42], v[19:20]
	v_add_f64 v[15:16], v[15:16], s[0:1]
	v_ldexp_f64 v[11:12], v[11:12], v4
	v_mul_f64 v[8:9], v[8:9], 0.5
	s_mov_b32 s0, 0
	s_mov_b32 s1, 0x7ff00000
	v_cmp_neq_f64_e32 vcc, s[0:1], v[13:14]
	v_cmp_neq_f64_e64 s[0:1], 0, v[13:14]
	v_mov_b32_e32 v4, 0x7ff00000
	v_add_f64 v[13:14], v[15:16], -v[29:30]
	v_mul_f64 v[8:9], v[11:12], v[8:9]
	v_cndmask_b32_e32 v4, v4, v18, vcc
	v_mov_b32_e32 v18, 0xfff00000
	s_and_b64 vcc, s[0:1], vcc
	v_cndmask_b32_e64 v16, v18, v4, s[0:1]
	v_cndmask_b32_e32 v15, 0, v17, vcc
	v_mul_f64 v[8:9], v[15:16], v[8:9]
	v_fma_f64 v[8:9], v[13:14], 0.5, -v[8:9]
	v_mul_f64 v[8:9], v[11:12], v[8:9]
                                        ; implicit-def: $vgpr11_vgpr12
.LBB7_84:
	s_andn2_saveexec_b64 s[0:1], s[10:11]
	s_cbranch_execz .LBB7_86
; %bb.85:
	s_mov_b32 s10, 0
	s_mov_b32 s11, 0x40200000
	v_div_scale_f64 v[8:9], s[12:13], v[11:12], v[11:12], s[10:11]
	v_mov_b32_e32 v4, 0x100
	v_rcp_f64_e32 v[13:14], v[8:9]
	v_fma_f64 v[15:16], -v[8:9], v[13:14], 1.0
	v_fma_f64 v[13:14], v[13:14], v[15:16], v[13:14]
	v_div_scale_f64 v[15:16], vcc, s[10:11], v[11:12], s[10:11]
	v_fma_f64 v[17:18], -v[8:9], v[13:14], 1.0
	v_fma_f64 v[13:14], v[13:14], v[17:18], v[13:14]
	v_mul_f64 v[17:18], v[15:16], v[13:14]
	v_fma_f64 v[8:9], -v[8:9], v[17:18], v[15:16]
	v_div_fmas_f64 v[8:9], v[8:9], v[13:14], v[17:18]
	v_mov_b32_e32 v13, 0x93812603
	v_mov_b32_e32 v14, 0xbc72fecc
	v_div_fixup_f64 v[8:9], v[8:9], v[11:12], s[10:11]
	s_mov_b32 s11, 0x3c5871a5
	s_mov_b32 s10, 0xcf8c9ee1
	v_add_f64 v[8:9], v[8:9], -2.0
	v_fma_f64 v[13:14], v[8:9], s[10:11], v[13:14]
	s_mov_b32 s11, 0xbc5871a5
	v_fma_f64 v[15:16], v[8:9], v[13:14], s[10:11]
	s_mov_b32 s10, 0x41a8cdf4
	s_mov_b32 s11, 0x3c8e092e
	v_add_f64 v[15:16], v[15:16], s[10:11]
	s_mov_b32 s10, 0x74d77641
	s_mov_b32 s11, 0xbca82f94
	v_fma_f64 v[13:14], v[8:9], v[15:16], -v[13:14]
	v_add_f64 v[13:14], v[13:14], s[10:11]
	s_mov_b32 s10, 0x6b94785b
	s_mov_b32 s11, 0x3cc3dbf9
	v_fma_f64 v[15:16], v[8:9], v[13:14], -v[15:16]
	;; [unrolled: 4-line block ×17, first 2 shown]
	v_add_f64 v[13:14], v[13:14], s[10:11]
	s_mov_b32 s10, 0
	s_brev_b32 s11, 8
	v_cmp_gt_f64_e32 vcc, s[10:11], v[11:12]
	s_mov_b32 s10, 0xcc7470a9
	s_mov_b32 s11, 0x3eed413f
	v_fma_f64 v[15:16], v[8:9], v[13:14], -v[15:16]
	v_cndmask_b32_e32 v4, 0, v4, vcc
	v_ldexp_f64 v[11:12], v[11:12], v4
	v_mov_b32_e32 v4, 0xffffff80
	v_cndmask_b32_e32 v4, 0, v4, vcc
	v_add_f64 v[15:16], v[15:16], s[10:11]
	s_mov_b32 s10, 0xe7889f42
	s_mov_b32 s11, 0xbf20d797
	v_rsq_f64_e32 v[17:18], v[11:12]
	v_fma_f64 v[13:14], v[8:9], v[15:16], -v[13:14]
	v_add_f64 v[13:14], v[13:14], s[10:11]
	s_mov_b32 s10, 0xfca79342
	s_mov_b32 s11, 0x3f59b891
	v_mul_f64 v[19:20], v[11:12], v[17:18]
	v_mul_f64 v[17:18], v[17:18], 0.5
	v_fma_f64 v[15:16], v[8:9], v[13:14], -v[15:16]
	v_fma_f64 v[21:22], -v[17:18], v[19:20], 0.5
	v_add_f64 v[15:16], v[15:16], s[10:11]
	s_mov_b32 s10, 0x2d4ff71e
	s_mov_b32 s11, 0xbfa019f7
	v_fma_f64 v[19:20], v[19:20], v[21:22], v[19:20]
	v_fma_f64 v[17:18], v[17:18], v[21:22], v[17:18]
	v_fma_f64 v[13:14], v[8:9], v[15:16], -v[13:14]
	v_fma_f64 v[21:22], -v[19:20], v[19:20], v[11:12]
	v_add_f64 v[13:14], v[13:14], s[10:11]
	s_mov_b32 s10, 0x9f4e6907
	s_mov_b32 s11, 0x400385bd
	v_fma_f64 v[19:20], v[21:22], v[17:18], v[19:20]
	v_fma_f64 v[8:9], v[8:9], v[13:14], -v[15:16]
	v_fma_f64 v[13:14], -v[19:20], v[19:20], v[11:12]
	v_add_f64 v[8:9], v[8:9], s[10:11]
	v_fma_f64 v[13:14], v[13:14], v[17:18], v[19:20]
	v_add_f64 v[8:9], v[8:9], -v[15:16]
	v_mov_b32_e32 v15, 0x260
	v_cmp_class_f64_e32 vcc, v[11:12], v15
	v_ldexp_f64 v[13:14], v[13:14], v4
	v_mul_f64 v[8:9], v[8:9], 0.5
	v_cndmask_b32_e32 v12, v14, v12, vcc
	v_cndmask_b32_e32 v11, v13, v11, vcc
	v_div_scale_f64 v[13:14], s[10:11], v[11:12], v[11:12], v[8:9]
	v_div_scale_f64 v[19:20], vcc, v[8:9], v[11:12], v[8:9]
	v_rcp_f64_e32 v[15:16], v[13:14]
	v_fma_f64 v[17:18], -v[13:14], v[15:16], 1.0
	v_fma_f64 v[15:16], v[15:16], v[17:18], v[15:16]
	v_fma_f64 v[17:18], -v[13:14], v[15:16], 1.0
	v_fma_f64 v[15:16], v[15:16], v[17:18], v[15:16]
	v_mul_f64 v[17:18], v[19:20], v[15:16]
	v_fma_f64 v[13:14], -v[13:14], v[17:18], v[19:20]
	v_div_fmas_f64 v[13:14], v[13:14], v[15:16], v[17:18]
	v_div_fixup_f64 v[8:9], v[13:14], v[11:12], v[8:9]
.LBB7_86:
	s_or_b64 exec, exec, s[0:1]
.LBB7_87:
	s_or_b64 exec, exec, s[8:9]
.LBB7_88:
	s_or_b64 exec, exec, s[2:3]
	global_load_dwordx2 v[14:15], v10, s[6:7]
	v_mov_b32_e32 v10, 0
	v_mov_b32_e32 v12, 0
	;; [unrolled: 1-line block ×4, first 2 shown]
	s_waitcnt vmcnt(0)
	v_cmp_neq_f64_e32 vcc, 0, v[14:15]
	s_and_saveexec_b64 s[2:3], vcc
	s_cbranch_execz .LBB7_96
; %bb.89:
	v_cmp_ngt_f64_e32 vcc, 0, v[14:15]
	v_mov_b32_e32 v12, 0
	v_mov_b32_e32 v13, 0x7ff80000
	s_and_saveexec_b64 s[8:9], vcc
	s_cbranch_execz .LBB7_95
; %bb.90:
	v_cmp_ge_f64_e32 vcc, 2.0, v[14:15]
                                        ; implicit-def: $vgpr12_vgpr13
	s_and_saveexec_b64 s[0:1], vcc
	s_xor_b64 s[10:11], exec, s[0:1]
	s_cbranch_execz .LBB7_92
; %bb.91:
	v_fma_f64 v[12:13], v[14:15], 0.5, -2.0
	v_mov_b32_e32 v16, 0x977da589
	v_mov_b32_e32 v17, 0x3c833362
	s_mov_b32 s1, 0xbc545cb7
	s_mov_b32 s0, 0x2134d0ef
	;; [unrolled: 1-line block ×5, first 2 shown]
	v_fma_f64 v[16:17], v[12:13], s[0:1], v[16:17]
	s_mov_b32 s1, 0x3c545cb7
	s_mov_b32 s30, 0x8a12100e
	s_mov_b32 s27, 0x3fd99999
	s_mov_b32 s31, 0x3f5adc75
	s_mov_b32 s25, 0x3ca3cee1
	s_mov_b32 s24, 0xe6a7fd77
	s_mov_b32 s29, 0x3fe62e42
	v_fma_f64 v[18:19], v[12:13], v[16:17], s[0:1]
	s_mov_b32 s0, 0x721ebbb4
	s_mov_b32 s1, 0xbcb184eb
	;; [unrolled: 1-line block ×7, first 2 shown]
	v_add_f64 v[18:19], v[18:19], s[0:1]
	s_mov_b32 s0, 0x93f65eba
	s_mov_b32 s1, 0x3cdee6d8
	s_mov_b32 s18, 0xe7f95efc
	s_mov_b32 s19, 0x3e9102bc
	s_mov_b32 s16, 0xfe8cfca0
	s_mov_b32 s17, 0x3ef7f900
	s_mov_b32 s12, 0x75633d73
	v_fma_f64 v[16:17], v[12:13], v[18:19], -v[16:17]
	s_mov_b32 s13, 0x3f54b82e
	v_add_f64 v[16:17], v[16:17], s[0:1]
	s_mov_b32 s0, 0xc297fbeb
	s_mov_b32 s1, 0xbd0a5022
	v_fma_f64 v[18:19], v[12:13], v[16:17], -v[18:19]
	v_add_f64 v[18:19], v[18:19], s[0:1]
	s_mov_b32 s0, 0x4b262627
	s_mov_b32 s1, 0x3d359b46
	v_fma_f64 v[16:17], v[12:13], v[18:19], -v[16:17]
	;; [unrolled: 4-line block ×4, first 2 shown]
	v_add_f64 v[20:21], v[16:17], s[0:1]
	v_mul_f64 v[16:17], v[14:15], 0.5
	s_mov_b32 s0, 0x7a946abc
	s_mov_b32 s1, 0xbdb2fc95
	v_fma_f64 v[18:19], v[12:13], v[20:21], -v[18:19]
	v_frexp_mant_f64_e32 v[22:23], v[16:17]
	v_add_f64 v[18:19], v[18:19], s[0:1]
	v_cmp_gt_f64_e32 vcc, s[14:15], v[22:23]
	s_mov_b32 s0, 0xcc743c10
	s_mov_b32 s1, 0x3dda98be
	;; [unrolled: 1-line block ×3, first 2 shown]
	v_fma_f64 v[20:21], v[12:13], v[18:19], -v[20:21]
	v_cndmask_b32_e64 v4, 0, 1, vcc
	v_ldexp_f64 v[22:23], v[22:23], v4
	v_frexp_exp_i32_f64_e32 v4, v[16:17]
	v_add_f64 v[20:21], v[20:21], s[0:1]
	s_mov_b32 s0, 0x13ae9556
	v_add_f64 v[24:25], v[22:23], 1.0
	s_mov_b32 s1, 0xbe01d4fe
	v_add_f64 v[30:31], v[22:23], -1.0
	v_subbrev_co_u32_e32 v4, vcc, 0, v4, vcc
	v_cvt_f64_i32_e32 v[40:41], v4
	v_fma_f64 v[18:19], v[12:13], v[20:21], -v[18:19]
	v_rcp_f64_e32 v[26:27], v[24:25]
	v_add_f64 v[32:33], v[24:25], -1.0
	v_mul_f64 v[44:45], v[40:41], s[28:29]
	v_add_f64 v[18:19], v[18:19], s[0:1]
	s_mov_b32 s0, 0xa454cb34
	s_mov_b32 s1, 0x3e26d903
	v_add_f64 v[22:23], v[22:23], -v[32:33]
	v_fma_f64 v[20:21], v[12:13], v[18:19], -v[20:21]
	v_fma_f64 v[28:29], -v[24:25], v[26:27], 1.0
	v_fma_f64 v[26:27], v[28:29], v[26:27], v[26:27]
	v_add_f64 v[28:29], v[20:21], s[0:1]
	s_mov_b32 s0, 0x8c0b30ab
	s_mov_b32 s1, 0xbe4beaf6
	v_fma_f64 v[20:21], -v[24:25], v[26:27], 1.0
	v_fma_f64 v[18:19], v[12:13], v[28:29], -v[18:19]
	v_fma_f64 v[26:27], v[20:21], v[26:27], v[26:27]
	v_add_f64 v[18:19], v[18:19], s[0:1]
	s_mov_b32 s0, 0x9d4d6435
	s_mov_b32 s1, 0x3e703b76
	v_mul_f64 v[20:21], v[30:31], v[26:27]
	v_fma_f64 v[28:29], v[12:13], v[18:19], -v[28:29]
	v_mul_f64 v[34:35], v[24:25], v[20:21]
	v_add_f64 v[28:29], v[28:29], s[0:1]
	s_mov_b32 s0, 0x8f227f8d
	s_mov_b32 s1, 0xbe91ec63
	v_fma_f64 v[24:25], v[20:21], v[24:25], -v[34:35]
	v_fma_f64 v[18:19], v[12:13], v[28:29], -v[18:19]
	v_fma_f64 v[22:23], v[20:21], v[22:23], v[24:25]
	v_add_f64 v[18:19], v[18:19], s[0:1]
	s_mov_b32 s0, 0x978cf4ac
	s_mov_b32 s1, 0x3eb2bf24
	v_add_f64 v[24:25], v[34:35], v[22:23]
	v_fma_f64 v[28:29], v[12:13], v[18:19], -v[28:29]
	v_add_f64 v[32:33], v[30:31], -v[24:25]
	v_add_f64 v[28:29], v[28:29], s[0:1]
	v_add_f64 v[34:35], v[24:25], -v[34:35]
	s_mov_b32 s0, 0xcba56427
	s_mov_b32 s1, 0xbed2866f
	v_add_f64 v[30:31], v[30:31], -v[32:33]
	v_fma_f64 v[18:19], v[12:13], v[28:29], -v[18:19]
	v_add_f64 v[22:23], v[34:35], -v[22:23]
	v_mov_b32_e32 v34, 0x6b47b09a
	v_mov_b32_e32 v35, 0x3fc38538
	v_add_f64 v[24:25], v[30:31], -v[24:25]
	v_add_f64 v[18:19], v[18:19], s[0:1]
	s_mov_b32 s0, 0xbe9a2859
	s_mov_b32 s1, 0x3ef13f58
	v_add_f64 v[22:23], v[22:23], v[24:25]
	v_fma_f64 v[24:25], v[12:13], v[18:19], -v[28:29]
	v_add_f64 v[22:23], v[32:33], v[22:23]
	v_add_f64 v[28:29], v[24:25], s[0:1]
	s_mov_b32 s0, 0x59c41d5a
	s_mov_b32 s1, 0xbf0e2b26
	v_mul_f64 v[22:23], v[26:27], v[22:23]
	v_fma_f64 v[30:31], v[12:13], v[28:29], -v[18:19]
	v_fma_f64 v[18:19], v[14:15], v[14:15], -2.0
	v_mov_b32_e32 v26, 0xc384c2aa
	v_mov_b32_e32 v27, 0x3d27fb0a
	v_add_f64 v[24:25], v[20:21], v[22:23]
	v_add_f64 v[30:31], v[30:31], s[0:1]
	s_mov_b32 s0, 0xbf559e2b
	s_mov_b32 s1, 0x3fc3ab76
	v_fma_f64 v[26:27], v[18:19], s[24:25], v[26:27]
	s_mov_b32 s25, 0xbca3cee1
	v_mul_f64 v[32:33], v[24:25], v[24:25]
	v_fma_f64 v[28:29], v[12:13], v[30:31], -v[28:29]
	v_ldexp_f64 v[38:39], v[24:25], 1
	v_add_f64 v[20:21], v[24:25], -v[20:21]
	v_fma_f64 v[42:43], v[18:19], v[26:27], s[24:25]
	v_fma_f64 v[34:35], v[32:33], s[0:1], v[34:35]
	s_mov_b32 s0, 0x74107cab
	s_mov_b32 s1, 0x3f28b51b
	v_add_f64 v[28:29], v[28:29], s[0:1]
	s_mov_b32 s0, 0xd7f4df2e
	s_mov_b32 s1, 0x3fc7474d
	v_mul_f64 v[36:37], v[24:25], v[32:33]
	v_add_f64 v[22:23], v[22:23], -v[20:21]
	v_fma_f64 v[34:35], v[32:33], v[34:35], s[0:1]
	s_mov_b32 s0, 0x16291751
	s_mov_b32 s1, 0x3fcc71c0
	v_fma_f64 v[30:31], v[12:13], v[28:29], -v[30:31]
	v_ldexp_f64 v[22:23], v[22:23], 1
	v_fma_f64 v[34:35], v[32:33], v[34:35], s[0:1]
	s_mov_b32 s0, 0x1f15eb52
	s_mov_b32 s1, 0xbf42e2fd
	v_add_f64 v[30:31], v[30:31], s[0:1]
	s_mov_b32 s0, 0x9b27acf1
	s_mov_b32 s1, 0x3fd24924
	v_fma_f64 v[34:35], v[32:33], v[34:35], s[0:1]
	s_mov_b32 s0, 0x554a9085
	s_mov_b32 s1, 0x3fa26bf6
	v_fma_f64 v[28:29], v[12:13], v[30:31], -v[28:29]
	v_fma_f64 v[34:35], v[32:33], v[34:35], s[26:27]
	s_mov_b32 s27, 0x3c7abc9e
	s_mov_b32 s26, 0x3b39803f
	v_add_f64 v[28:29], v[28:29], s[30:31]
	s_mov_b32 s30, 0x201aa849
	s_mov_b32 s31, 0xbf71b65e
	v_fma_f64 v[32:33], v[32:33], v[34:35], s[14:15]
	s_mov_b32 s14, 0x652b82fe
	s_mov_b32 s15, 0x3ff71547
	v_fma_f64 v[30:31], v[12:13], v[28:29], -v[30:31]
	v_mov_b32_e32 v34, 0xfca7ab0c
	v_mov_b32_e32 v35, 0x3e928af3
	v_mul_f64 v[32:33], v[36:37], v[32:33]
	v_mul_f64 v[36:37], v[14:15], s[14:15]
	s_mov_b32 s14, 0xf3dde3dd
	v_add_f64 v[30:31], v[30:31], s[30:31]
	s_mov_b32 s15, 0x3f859961
	v_add_f64 v[24:25], v[38:39], v[32:33]
	v_rndne_f64_e32 v[20:21], v[36:37]
	v_add_f64 v[36:37], v[42:43], s[22:23]
	v_fma_f64 v[28:29], v[12:13], v[30:31], -v[28:29]
	v_fma_f64 v[42:43], v[40:41], s[28:29], -v[44:45]
	s_mov_b32 s29, 0xbfe62e42
	s_mov_b32 s22, 0xf121b6f0
	;; [unrolled: 1-line block ×3, first 2 shown]
	v_add_f64 v[38:39], v[24:25], -v[38:39]
	v_fma_f64 v[14:15], v[20:21], s[28:29], v[14:15]
	v_fma_f64 v[26:27], v[18:19], v[36:37], -v[26:27]
	v_add_f64 v[28:29], v[28:29], s[14:15]
	s_mov_b32 s14, 0x6a5dcb37
	s_mov_b32 s15, 0x3e5ade15
	v_cvt_i32_f64_e32 v4, v[20:21]
	v_add_f64 v[32:33], v[32:33], -v[38:39]
	v_fma_f64 v[38:39], v[40:41], s[26:27], v[42:43]
	s_mov_b32 s27, 0xbc7abc9e
	v_fma_f64 v[30:31], v[12:13], v[28:29], -v[30:31]
	v_fma_f64 v[14:15], v[20:21], s[26:27], v[14:15]
	v_add_f64 v[26:27], v[26:27], s[20:21]
	s_mov_b32 s20, 0x623fde64
	s_mov_b32 s21, 0x3ec71dee
	v_add_f64 v[32:33], v[22:23], v[32:33]
	v_add_f64 v[40:41], v[44:45], v[38:39]
	v_add_f64 v[30:31], v[30:31], s[22:23]
	v_fma_f64 v[34:35], v[14:15], s[14:15], v[34:35]
	v_fma_f64 v[36:37], v[18:19], v[26:27], -v[36:37]
	s_mov_b32 s22, 0xcea8a32d
	s_mov_b32 s23, 0x3fa93e8a
	v_add_f64 v[42:43], v[24:25], v[32:33]
	s_mov_b32 s14, 0x7c89e6b0
	s_mov_b32 s15, 0x3efa0199
	v_fma_f64 v[28:29], v[12:13], v[30:31], -v[28:29]
	v_fma_f64 v[34:35], v[14:15], v[34:35], s[20:21]
	v_add_f64 v[36:37], v[36:37], s[18:19]
	s_mov_b32 s18, 0x14761f6e
	s_mov_b32 s19, 0x3f2a01a0
	v_add_f64 v[22:23], v[40:41], v[42:43]
	v_add_f64 v[44:45], v[40:41], -v[44:45]
	v_add_f64 v[24:25], v[42:43], -v[24:25]
	v_add_f64 v[28:29], v[28:29], s[22:23]
	v_fma_f64 v[34:35], v[14:15], v[34:35], s[14:15]
	v_fma_f64 v[26:27], v[18:19], v[36:37], -v[26:27]
	s_mov_b32 s14, 0x342d06ea
	s_mov_b32 s15, 0xbfb84b70
	v_add_f64 v[46:47], v[22:23], -v[40:41]
	s_mov_b32 s20, 0x1852b7b0
	s_mov_b32 s21, 0x3f56c16c
	v_fma_f64 v[30:31], v[12:13], v[28:29], -v[30:31]
	v_fma_f64 v[34:35], v[14:15], v[34:35], s[18:19]
	v_add_f64 v[26:27], v[26:27], s[16:17]
	v_add_f64 v[38:39], v[38:39], -v[44:45]
	v_add_f64 v[24:25], v[32:33], -v[24:25]
	;; [unrolled: 1-line block ×4, first 2 shown]
	s_mov_b32 s16, 0x77ac88c0
	v_add_f64 v[30:31], v[30:31], s[14:15]
	v_fma_f64 v[34:35], v[14:15], v[34:35], s[20:21]
	s_mov_b32 s14, 0x11122322
	v_fma_f64 v[36:37], v[18:19], v[26:27], -v[36:37]
	s_mov_b32 s15, 0x3f811111
	v_add_f64 v[40:41], v[40:41], -v[48:49]
	s_mov_b32 s17, 0x3fc5f7ac
	v_add_f64 v[42:43], v[38:39], v[24:25]
	v_fma_f64 v[28:29], v[12:13], v[30:31], -v[28:29]
	v_fma_f64 v[34:35], v[14:15], v[34:35], s[14:15]
	s_mov_b32 s14, 0x55555511
	v_add_f64 v[36:37], v[36:37], s[12:13]
	s_mov_b32 s12, 0x555502a1
	v_add_f64 v[32:33], v[32:33], v[40:41]
	s_mov_b32 s13, 0x3fa55555
	v_add_f64 v[40:41], v[42:43], -v[38:39]
	v_add_f64 v[28:29], v[28:29], s[16:17]
	v_fma_f64 v[34:35], v[14:15], v[34:35], s[12:13]
	s_mov_b32 s12, 0xc057cd8d
	v_fma_f64 v[26:27], v[18:19], v[36:37], -v[26:27]
	s_mov_b32 s15, 0x3fc55555
	v_add_f64 v[32:33], v[42:43], v[32:33]
	s_mov_b32 s13, 0xbfd37feb
	v_add_f64 v[42:43], v[42:43], -v[40:41]
	v_fma_f64 v[30:31], v[12:13], v[28:29], -v[30:31]
	v_fma_f64 v[34:35], v[14:15], v[34:35], s[14:15]
	v_add_f64 v[24:25], v[24:25], -v[40:41]
	v_add_f64 v[26:27], v[26:27], s[0:1]
	s_mov_b32 s0, 11
	v_add_f64 v[44:45], v[22:23], v[32:33]
	s_mov_b32 s1, 0x3fe00000
	v_add_f64 v[38:39], v[38:39], -v[42:43]
	v_add_f64 v[30:31], v[30:31], s[12:13]
	v_fma_f64 v[34:35], v[14:15], v[34:35], s[0:1]
	s_mov_b32 s0, 0x9035a22a
	s_mov_b32 s1, 0x3fe5a84e
	;; [unrolled: 1-line block ×3, first 2 shown]
	v_add_f64 v[22:23], v[44:45], -v[22:23]
	s_mov_b32 s13, 0x3fd608d8
	v_add_f64 v[24:25], v[24:25], v[38:39]
	v_fma_f64 v[12:13], v[12:13], v[30:31], -v[28:29]
	v_fma_f64 v[30:31], v[18:19], v[26:27], -v[36:37]
	v_add_f64 v[22:23], v[32:33], -v[22:23]
	v_fma_f64 v[32:33], v[14:15], v[34:35], 1.0
	v_add_f64 v[12:13], v[12:13], s[0:1]
	v_add_f64 v[30:31], v[30:31], s[12:13]
	s_mov_b32 s0, 0xe9d2f61f
	s_mov_b32 s12, 0
	;; [unrolled: 1-line block ×3, first 2 shown]
	v_add_f64 v[22:23], v[24:25], v[22:23]
	v_fma_f64 v[14:15], v[14:15], v[32:33], 1.0
	s_mov_b32 s13, 0x7ff00000
	v_add_f64 v[12:13], v[12:13], -v[28:29]
	v_fma_f64 v[18:19], v[18:19], v[30:31], -v[26:27]
	v_cmp_neq_f64_e32 vcc, s[12:13], v[16:17]
	v_add_f64 v[20:21], v[44:45], v[22:23]
	v_ldexp_f64 v[14:15], v[14:15], v4
	v_mov_b32_e32 v4, 0x7ff00000
	v_mul_f64 v[12:13], v[12:13], 0.5
	v_add_f64 v[18:19], v[18:19], s[0:1]
	v_cmp_neq_f64_e64 s[0:1], 0, v[16:17]
	v_cndmask_b32_e32 v4, v4, v21, vcc
	v_mov_b32_e32 v21, 0xfff00000
	v_mul_f64 v[12:13], v[14:15], v[12:13]
	v_add_f64 v[16:17], v[18:19], -v[26:27]
	s_and_b64 vcc, s[0:1], vcc
	v_cndmask_b32_e64 v19, v21, v4, s[0:1]
	v_cndmask_b32_e32 v18, 0, v20, vcc
	v_mul_f64 v[12:13], v[18:19], v[12:13]
	v_fma_f64 v[12:13], v[16:17], 0.5, -v[12:13]
	v_mul_f64 v[12:13], v[14:15], v[12:13]
                                        ; implicit-def: $vgpr14_vgpr15
.LBB7_92:
	s_andn2_saveexec_b64 s[0:1], s[10:11]
	s_cbranch_execz .LBB7_94
; %bb.93:
	s_mov_b32 s10, 0
	s_mov_b32 s11, 0x40200000
	v_div_scale_f64 v[12:13], s[12:13], v[14:15], v[14:15], s[10:11]
	v_mov_b32_e32 v4, 0x100
	v_rcp_f64_e32 v[16:17], v[12:13]
	v_fma_f64 v[18:19], -v[12:13], v[16:17], 1.0
	v_fma_f64 v[16:17], v[16:17], v[18:19], v[16:17]
	v_div_scale_f64 v[18:19], vcc, s[10:11], v[14:15], s[10:11]
	v_fma_f64 v[20:21], -v[12:13], v[16:17], 1.0
	v_fma_f64 v[16:17], v[16:17], v[20:21], v[16:17]
	v_mul_f64 v[20:21], v[18:19], v[16:17]
	v_fma_f64 v[12:13], -v[12:13], v[20:21], v[18:19]
	v_div_fmas_f64 v[12:13], v[12:13], v[16:17], v[20:21]
	v_mov_b32_e32 v16, 0x93812603
	v_mov_b32_e32 v17, 0xbc72fecc
	v_div_fixup_f64 v[12:13], v[12:13], v[14:15], s[10:11]
	s_mov_b32 s11, 0x3c5871a5
	s_mov_b32 s10, 0xcf8c9ee1
	v_add_f64 v[12:13], v[12:13], -2.0
	v_fma_f64 v[16:17], v[12:13], s[10:11], v[16:17]
	s_mov_b32 s11, 0xbc5871a5
	v_fma_f64 v[18:19], v[12:13], v[16:17], s[10:11]
	s_mov_b32 s10, 0x41a8cdf4
	s_mov_b32 s11, 0x3c8e092e
	v_add_f64 v[18:19], v[18:19], s[10:11]
	s_mov_b32 s10, 0x74d77641
	s_mov_b32 s11, 0xbca82f94
	v_fma_f64 v[16:17], v[12:13], v[18:19], -v[16:17]
	v_add_f64 v[16:17], v[16:17], s[10:11]
	s_mov_b32 s10, 0x6b94785b
	s_mov_b32 s11, 0x3cc3dbf9
	v_fma_f64 v[18:19], v[12:13], v[16:17], -v[18:19]
	;; [unrolled: 4-line block ×17, first 2 shown]
	v_add_f64 v[16:17], v[16:17], s[10:11]
	s_mov_b32 s10, 0
	s_brev_b32 s11, 8
	v_cmp_gt_f64_e32 vcc, s[10:11], v[14:15]
	s_mov_b32 s10, 0xcc7470a9
	s_mov_b32 s11, 0x3eed413f
	v_fma_f64 v[18:19], v[12:13], v[16:17], -v[18:19]
	v_cndmask_b32_e32 v4, 0, v4, vcc
	v_ldexp_f64 v[14:15], v[14:15], v4
	v_mov_b32_e32 v4, 0xffffff80
	v_cndmask_b32_e32 v4, 0, v4, vcc
	v_add_f64 v[18:19], v[18:19], s[10:11]
	s_mov_b32 s10, 0xe7889f42
	s_mov_b32 s11, 0xbf20d797
	v_rsq_f64_e32 v[20:21], v[14:15]
	v_fma_f64 v[16:17], v[12:13], v[18:19], -v[16:17]
	v_add_f64 v[16:17], v[16:17], s[10:11]
	s_mov_b32 s10, 0xfca79342
	s_mov_b32 s11, 0x3f59b891
	v_mul_f64 v[22:23], v[14:15], v[20:21]
	v_mul_f64 v[20:21], v[20:21], 0.5
	v_fma_f64 v[18:19], v[12:13], v[16:17], -v[18:19]
	v_fma_f64 v[24:25], -v[20:21], v[22:23], 0.5
	v_add_f64 v[18:19], v[18:19], s[10:11]
	s_mov_b32 s10, 0x2d4ff71e
	s_mov_b32 s11, 0xbfa019f7
	v_fma_f64 v[22:23], v[22:23], v[24:25], v[22:23]
	v_fma_f64 v[20:21], v[20:21], v[24:25], v[20:21]
	v_fma_f64 v[16:17], v[12:13], v[18:19], -v[16:17]
	v_fma_f64 v[24:25], -v[22:23], v[22:23], v[14:15]
	v_add_f64 v[16:17], v[16:17], s[10:11]
	s_mov_b32 s10, 0x9f4e6907
	s_mov_b32 s11, 0x400385bd
	v_fma_f64 v[22:23], v[24:25], v[20:21], v[22:23]
	v_fma_f64 v[12:13], v[12:13], v[16:17], -v[18:19]
	v_fma_f64 v[16:17], -v[22:23], v[22:23], v[14:15]
	v_add_f64 v[12:13], v[12:13], s[10:11]
	v_fma_f64 v[16:17], v[16:17], v[20:21], v[22:23]
	v_add_f64 v[12:13], v[12:13], -v[18:19]
	v_mov_b32_e32 v18, 0x260
	v_cmp_class_f64_e32 vcc, v[14:15], v18
	v_ldexp_f64 v[16:17], v[16:17], v4
	v_mul_f64 v[12:13], v[12:13], 0.5
	v_cndmask_b32_e32 v15, v17, v15, vcc
	v_cndmask_b32_e32 v14, v16, v14, vcc
	v_div_scale_f64 v[16:17], s[10:11], v[14:15], v[14:15], v[12:13]
	v_div_scale_f64 v[22:23], vcc, v[12:13], v[14:15], v[12:13]
	v_rcp_f64_e32 v[18:19], v[16:17]
	v_fma_f64 v[20:21], -v[16:17], v[18:19], 1.0
	v_fma_f64 v[18:19], v[18:19], v[20:21], v[18:19]
	v_fma_f64 v[20:21], -v[16:17], v[18:19], 1.0
	v_fma_f64 v[18:19], v[18:19], v[20:21], v[18:19]
	v_mul_f64 v[20:21], v[22:23], v[18:19]
	v_fma_f64 v[16:17], -v[16:17], v[20:21], v[22:23]
	v_div_fmas_f64 v[16:17], v[16:17], v[18:19], v[20:21]
	v_div_fixup_f64 v[12:13], v[16:17], v[14:15], v[12:13]
.LBB7_94:
	s_or_b64 exec, exec, s[0:1]
.LBB7_95:
	s_or_b64 exec, exec, s[8:9]
.LBB7_96:
	s_or_b64 exec, exec, s[2:3]
	global_load_dwordx2 v[4:5], v5, s[6:7]
	s_waitcnt vmcnt(0)
	v_cmp_neq_f64_e32 vcc, 0, v[4:5]
	s_and_saveexec_b64 s[2:3], vcc
	s_cbranch_execz .LBB7_104
; %bb.97:
	v_cmp_ngt_f64_e32 vcc, 0, v[4:5]
	v_mov_b32_e32 v10, 0
	v_mov_b32_e32 v11, 0x7ff80000
	s_and_saveexec_b64 s[6:7], vcc
	s_cbranch_execz .LBB7_103
; %bb.98:
	v_cmp_ge_f64_e32 vcc, 2.0, v[4:5]
                                        ; implicit-def: $vgpr10_vgpr11
	s_and_saveexec_b64 s[0:1], vcc
	s_xor_b64 s[8:9], exec, s[0:1]
	s_cbranch_execz .LBB7_100
; %bb.99:
	v_fma_f64 v[10:11], v[4:5], 0.5, -2.0
	v_mov_b32_e32 v14, 0x977da589
	v_mov_b32_e32 v15, 0x3c833362
	s_mov_b32 s1, 0xbc545cb7
	s_mov_b32 s0, 0x2134d0ef
	s_mov_b32 s10, 0x7a946abc
	s_mov_b32 s11, 0xbdb2fc95
	s_mov_b32 s26, 0x998ef7b6
	v_fma_f64 v[14:15], v[10:11], s[0:1], v[14:15]
	s_mov_b32 s1, 0x3c545cb7
	s_mov_b32 s27, 0x3fd99999
	;; [unrolled: 1-line block ×7, first 2 shown]
	v_fma_f64 v[16:17], v[10:11], v[14:15], s[0:1]
	s_mov_b32 s0, 0x721ebbb4
	s_mov_b32 s1, 0xbcb184eb
	;; [unrolled: 1-line block ×7, first 2 shown]
	v_add_f64 v[16:17], v[16:17], s[0:1]
	s_mov_b32 s0, 0x93f65eba
	s_mov_b32 s1, 0x3cdee6d8
	s_mov_b32 s18, 0xe7f95efc
	s_mov_b32 s19, 0x3e9102bc
	s_mov_b32 s16, 0xfe8cfca0
	s_mov_b32 s17, 0x3ef7f900
	s_mov_b32 s14, 0x75633d73
	v_fma_f64 v[14:15], v[10:11], v[16:17], -v[14:15]
	s_mov_b32 s15, 0x3f54b82e
	s_mov_b32 s12, 0x554a9085
	;; [unrolled: 1-line block ×3, first 2 shown]
	v_add_f64 v[14:15], v[14:15], s[0:1]
	s_mov_b32 s0, 0xc297fbeb
	s_mov_b32 s1, 0xbd0a5022
	v_fma_f64 v[16:17], v[10:11], v[14:15], -v[16:17]
	v_add_f64 v[16:17], v[16:17], s[0:1]
	s_mov_b32 s0, 0x4b262627
	s_mov_b32 s1, 0x3d359b46
	v_fma_f64 v[14:15], v[10:11], v[16:17], -v[14:15]
	;; [unrolled: 4-line block ×4, first 2 shown]
	v_add_f64 v[18:19], v[14:15], s[0:1]
	v_mul_f64 v[14:15], v[4:5], 0.5
	s_mov_b32 s1, 0x3fe55555
	s_mov_b32 s0, 0x55555555
	v_fma_f64 v[16:17], v[10:11], v[18:19], -v[16:17]
	v_frexp_mant_f64_e32 v[20:21], v[14:15]
	v_frexp_exp_i32_f64_e32 v40, v[14:15]
	v_add_f64 v[16:17], v[16:17], s[10:11]
	v_cmp_gt_f64_e32 vcc, s[0:1], v[20:21]
	s_mov_b32 s10, 0xcc743c10
	s_mov_b32 s11, 0x3dda98be
	;; [unrolled: 1-line block ×3, first 2 shown]
	v_fma_f64 v[18:19], v[10:11], v[16:17], -v[18:19]
	v_cndmask_b32_e64 v22, 0, 1, vcc
	v_ldexp_f64 v[20:21], v[20:21], v22
	v_subbrev_co_u32_e32 v40, vcc, 0, v40, vcc
	v_cvt_f64_i32_e32 v[40:41], v40
	v_add_f64 v[18:19], v[18:19], s[10:11]
	s_mov_b32 s10, 0x13ae9556
	v_add_f64 v[22:23], v[20:21], 1.0
	s_mov_b32 s11, 0xbe01d4fe
	v_add_f64 v[28:29], v[20:21], -1.0
	v_mul_f64 v[42:43], v[40:41], s[28:29]
	v_fma_f64 v[16:17], v[10:11], v[18:19], -v[16:17]
	v_rcp_f64_e32 v[24:25], v[22:23]
	v_add_f64 v[30:31], v[22:23], -1.0
	v_add_f64 v[16:17], v[16:17], s[10:11]
	s_mov_b32 s10, 0xa454cb34
	s_mov_b32 s11, 0x3e26d903
	v_add_f64 v[20:21], v[20:21], -v[30:31]
	v_fma_f64 v[18:19], v[10:11], v[16:17], -v[18:19]
	v_fma_f64 v[26:27], -v[22:23], v[24:25], 1.0
	v_fma_f64 v[24:25], v[26:27], v[24:25], v[24:25]
	v_add_f64 v[26:27], v[18:19], s[10:11]
	s_mov_b32 s10, 0x8c0b30ab
	s_mov_b32 s11, 0xbe4beaf6
	v_fma_f64 v[18:19], -v[22:23], v[24:25], 1.0
	v_fma_f64 v[16:17], v[10:11], v[26:27], -v[16:17]
	v_fma_f64 v[24:25], v[18:19], v[24:25], v[24:25]
	v_add_f64 v[16:17], v[16:17], s[10:11]
	s_mov_b32 s10, 0x9d4d6435
	s_mov_b32 s11, 0x3e703b76
	v_mul_f64 v[18:19], v[28:29], v[24:25]
	v_fma_f64 v[26:27], v[10:11], v[16:17], -v[26:27]
	v_mul_f64 v[32:33], v[22:23], v[18:19]
	v_add_f64 v[26:27], v[26:27], s[10:11]
	s_mov_b32 s10, 0x8f227f8d
	s_mov_b32 s11, 0xbe91ec63
	v_fma_f64 v[22:23], v[18:19], v[22:23], -v[32:33]
	v_fma_f64 v[16:17], v[10:11], v[26:27], -v[16:17]
	v_fma_f64 v[20:21], v[18:19], v[20:21], v[22:23]
	v_add_f64 v[16:17], v[16:17], s[10:11]
	s_mov_b32 s10, 0x978cf4ac
	s_mov_b32 s11, 0x3eb2bf24
	v_add_f64 v[22:23], v[32:33], v[20:21]
	v_fma_f64 v[26:27], v[10:11], v[16:17], -v[26:27]
	v_add_f64 v[30:31], v[28:29], -v[22:23]
	v_add_f64 v[26:27], v[26:27], s[10:11]
	v_add_f64 v[32:33], v[22:23], -v[32:33]
	s_mov_b32 s10, 0xcba56427
	s_mov_b32 s11, 0xbed2866f
	v_add_f64 v[28:29], v[28:29], -v[30:31]
	v_fma_f64 v[16:17], v[10:11], v[26:27], -v[16:17]
	v_add_f64 v[20:21], v[32:33], -v[20:21]
	v_mov_b32_e32 v32, 0x6b47b09a
	v_mov_b32_e32 v33, 0x3fc38538
	v_add_f64 v[22:23], v[28:29], -v[22:23]
	v_add_f64 v[16:17], v[16:17], s[10:11]
	s_mov_b32 s10, 0xbe9a2859
	s_mov_b32 s11, 0x3ef13f58
	v_add_f64 v[20:21], v[20:21], v[22:23]
	v_fma_f64 v[22:23], v[10:11], v[16:17], -v[26:27]
	v_mov_b32_e32 v26, 0xc384c2aa
	v_mov_b32_e32 v27, 0x3d27fb0a
	v_add_f64 v[20:21], v[30:31], v[20:21]
	v_add_f64 v[22:23], v[22:23], s[10:11]
	s_mov_b32 s10, 0x59c41d5a
	s_mov_b32 s11, 0xbf0e2b26
	v_mul_f64 v[20:21], v[24:25], v[20:21]
	v_fma_f64 v[24:25], v[10:11], v[22:23], -v[16:17]
	v_fma_f64 v[16:17], v[4:5], v[4:5], -2.0
	v_add_f64 v[28:29], v[18:19], v[20:21]
	v_add_f64 v[24:25], v[24:25], s[10:11]
	s_mov_b32 s10, 0xbf559e2b
	s_mov_b32 s11, 0x3fc3ab76
	v_fma_f64 v[26:27], v[16:17], s[22:23], v[26:27]
	s_mov_b32 s23, 0xbca3cee1
	v_mul_f64 v[30:31], v[28:29], v[28:29]
	v_fma_f64 v[22:23], v[10:11], v[24:25], -v[22:23]
	v_ldexp_f64 v[36:37], v[28:29], 1
	v_add_f64 v[18:19], v[28:29], -v[18:19]
	v_fma_f64 v[38:39], v[16:17], v[26:27], s[22:23]
	s_mov_b32 s22, 0xf121b6f0
	s_mov_b32 s23, 0xbf984e9e
	v_fma_f64 v[32:33], v[30:31], s[10:11], v[32:33]
	s_mov_b32 s10, 0x74107cab
	s_mov_b32 s11, 0x3f28b51b
	v_add_f64 v[22:23], v[22:23], s[10:11]
	s_mov_b32 s10, 0xd7f4df2e
	s_mov_b32 s11, 0x3fc7474d
	v_mul_f64 v[34:35], v[28:29], v[30:31]
	v_add_f64 v[38:39], v[38:39], s[24:25]
	v_fma_f64 v[32:33], v[30:31], v[32:33], s[10:11]
	s_mov_b32 s10, 0x16291751
	s_mov_b32 s11, 0x3fcc71c0
	v_fma_f64 v[24:25], v[10:11], v[22:23], -v[24:25]
	v_add_f64 v[20:21], v[20:21], -v[18:19]
	v_fma_f64 v[26:27], v[16:17], v[38:39], -v[26:27]
	v_fma_f64 v[32:33], v[30:31], v[32:33], s[10:11]
	s_mov_b32 s10, 0x1f15eb52
	s_mov_b32 s11, 0xbf42e2fd
	v_add_f64 v[24:25], v[24:25], s[10:11]
	s_mov_b32 s10, 0x9b27acf1
	s_mov_b32 s11, 0x3fd24924
	v_ldexp_f64 v[20:21], v[20:21], 1
	v_add_f64 v[26:27], v[26:27], s[20:21]
	v_fma_f64 v[32:33], v[30:31], v[32:33], s[10:11]
	s_mov_b32 s20, 0x623fde64
	s_mov_b32 s21, 0x3ec71dee
	v_fma_f64 v[22:23], v[10:11], v[24:25], -v[22:23]
	s_mov_b32 s10, 0x81213db9
	s_mov_b32 s11, 0x3fd608d8
	v_fma_f64 v[38:39], v[16:17], v[26:27], -v[38:39]
	v_fma_f64 v[32:33], v[30:31], v[32:33], s[26:27]
	s_mov_b32 s26, 0x8a12100e
	s_mov_b32 s27, 0x3f5adc75
	v_add_f64 v[22:23], v[22:23], s[26:27]
	s_mov_b32 s26, 0x652b82fe
	s_mov_b32 s27, 0x3ff71547
	v_add_f64 v[38:39], v[38:39], s[18:19]
	v_fma_f64 v[30:31], v[30:31], v[32:33], s[0:1]
	s_mov_b32 s0, 0x201aa849
	s_mov_b32 s1, 0xbf71b65e
	v_fma_f64 v[24:25], v[10:11], v[22:23], -v[24:25]
	v_mov_b32_e32 v32, 0xfca7ab0c
	v_mov_b32_e32 v33, 0x3e928af3
	s_mov_b32 s18, 0x14761f6e
	v_fma_f64 v[26:27], v[16:17], v[38:39], -v[26:27]
	v_mul_f64 v[30:31], v[34:35], v[30:31]
	v_mul_f64 v[34:35], v[4:5], s[26:27]
	s_mov_b32 s19, 0x3f2a01a0
	v_add_f64 v[24:25], v[24:25], s[0:1]
	s_mov_b32 s0, 0xf3dde3dd
	s_mov_b32 s1, 0x3f859961
	v_add_f64 v[26:27], v[26:27], s[16:17]
	v_add_f64 v[28:29], v[36:37], v[30:31]
	v_rndne_f64_e32 v[18:19], v[34:35]
	v_fma_f64 v[34:35], v[40:41], s[28:29], -v[42:43]
	v_fma_f64 v[22:23], v[10:11], v[24:25], -v[22:23]
	s_mov_b32 s29, 0xbfe62e42
	s_mov_b32 s16, 0x77ac88c0
	;; [unrolled: 1-line block ×3, first 2 shown]
	v_add_f64 v[36:37], v[28:29], -v[36:37]
	v_fma_f64 v[4:5], v[18:19], s[28:29], v[4:5]
	v_fma_f64 v[34:35], v[40:41], s[30:31], v[34:35]
	v_add_f64 v[22:23], v[22:23], s[0:1]
	s_mov_b32 s31, 0xbc7abc9e
	s_mov_b32 s0, 0x6a5dcb37
	;; [unrolled: 1-line block ×3, first 2 shown]
	v_add_f64 v[30:31], v[30:31], -v[36:37]
	v_fma_f64 v[4:5], v[18:19], s[30:31], v[4:5]
	v_fma_f64 v[24:25], v[10:11], v[22:23], -v[24:25]
	v_add_f64 v[20:21], v[20:21], v[30:31]
	v_add_f64 v[30:31], v[42:43], v[34:35]
	v_fma_f64 v[32:33], v[4:5], s[0:1], v[32:33]
	v_add_f64 v[24:25], v[24:25], s[22:23]
	s_mov_b32 s22, 0xcea8a32d
	s_mov_b32 s23, 0x3fa93e8a
	;; [unrolled: 1-line block ×4, first 2 shown]
	v_add_f64 v[36:37], v[28:29], v[20:21]
	v_add_f64 v[42:43], v[30:31], -v[42:43]
	v_fma_f64 v[32:33], v[4:5], v[32:33], s[20:21]
	v_fma_f64 v[22:23], v[10:11], v[24:25], -v[22:23]
	s_mov_b32 s20, 0x1852b7b0
	s_mov_b32 s21, 0x3f56c16c
	v_add_f64 v[40:41], v[30:31], v[36:37]
	v_add_f64 v[28:29], v[36:37], -v[28:29]
	v_fma_f64 v[32:33], v[4:5], v[32:33], s[0:1]
	v_add_f64 v[22:23], v[22:23], s[22:23]
	s_mov_b32 s0, 0x342d06ea
	s_mov_b32 s1, 0xbfb84b70
	v_add_f64 v[34:35], v[34:35], -v[42:43]
	v_add_f64 v[44:45], v[40:41], -v[30:31]
	;; [unrolled: 1-line block ×3, first 2 shown]
	v_fma_f64 v[32:33], v[4:5], v[32:33], s[18:19]
	v_fma_f64 v[24:25], v[10:11], v[22:23], -v[24:25]
	v_add_f64 v[46:47], v[40:41], -v[44:45]
	v_add_f64 v[28:29], v[36:37], -v[44:45]
	v_fma_f64 v[36:37], v[16:17], v[26:27], -v[38:39]
	v_add_f64 v[24:25], v[24:25], s[0:1]
	v_fma_f64 v[32:33], v[4:5], v[32:33], s[20:21]
	s_mov_b32 s0, 0x11122322
	s_mov_b32 s1, 0x3f811111
	v_add_f64 v[38:39], v[34:35], v[20:21]
	v_add_f64 v[30:31], v[30:31], -v[46:47]
	v_fma_f64 v[22:23], v[10:11], v[24:25], -v[22:23]
	v_fma_f64 v[32:33], v[4:5], v[32:33], s[0:1]
	s_mov_b32 s0, 0x555502a1
	s_mov_b32 s1, 0x3fa55555
	v_add_f64 v[28:29], v[28:29], v[30:31]
	v_add_f64 v[30:31], v[36:37], s[14:15]
	s_mov_b32 s14, 0x55555511
	v_add_f64 v[22:23], v[22:23], s[16:17]
	v_fma_f64 v[32:33], v[4:5], v[32:33], s[0:1]
	v_add_f64 v[36:37], v[38:39], -v[34:35]
	s_mov_b32 s0, 0xc057cd8d
	s_mov_b32 s15, 0x3fc55555
	v_add_f64 v[28:29], v[38:39], v[28:29]
	v_fma_f64 v[26:27], v[16:17], v[30:31], -v[26:27]
	s_mov_b32 s1, 0xbfd37feb
	v_fma_f64 v[24:25], v[10:11], v[22:23], -v[24:25]
	v_fma_f64 v[32:33], v[4:5], v[32:33], s[14:15]
	v_add_f64 v[38:39], v[38:39], -v[36:37]
	v_add_f64 v[20:21], v[20:21], -v[36:37]
	v_add_f64 v[42:43], v[40:41], v[28:29]
	v_add_f64 v[26:27], v[26:27], s[12:13]
	;; [unrolled: 1-line block ×3, first 2 shown]
	s_mov_b32 s0, 11
	s_mov_b32 s1, 0x3fe00000
	v_fma_f64 v[32:33], v[4:5], v[32:33], s[0:1]
	v_add_f64 v[34:35], v[34:35], -v[38:39]
	v_add_f64 v[36:37], v[42:43], -v[40:41]
	v_fma_f64 v[30:31], v[16:17], v[26:27], -v[30:31]
	s_mov_b32 s0, 0x9035a22a
	v_fma_f64 v[10:11], v[10:11], v[24:25], -v[22:23]
	s_mov_b32 s1, 0x3fe5a84e
	v_add_f64 v[20:21], v[20:21], v[34:35]
	v_add_f64 v[24:25], v[28:29], -v[36:37]
	v_add_f64 v[28:29], v[30:31], s[10:11]
	v_fma_f64 v[30:31], v[4:5], v[32:33], 1.0
	v_add_f64 v[10:11], v[10:11], s[0:1]
	s_mov_b32 s0, 0xe9d2f61f
	s_mov_b32 s1, 0xbfe12166
	v_add_f64 v[20:21], v[20:21], v[24:25]
	v_fma_f64 v[16:17], v[16:17], v[28:29], -v[26:27]
	v_fma_f64 v[4:5], v[4:5], v[30:31], 1.0
	v_add_f64 v[10:11], v[10:11], -v[22:23]
	v_cvt_i32_f64_e32 v22, v[18:19]
	v_add_f64 v[18:19], v[42:43], v[20:21]
	v_add_f64 v[16:17], v[16:17], s[0:1]
	v_ldexp_f64 v[4:5], v[4:5], v22
	v_mul_f64 v[10:11], v[10:11], 0.5
	s_mov_b32 s0, 0
	s_mov_b32 s1, 0x7ff00000
	v_cmp_neq_f64_e32 vcc, s[0:1], v[14:15]
	v_cmp_neq_f64_e64 s[0:1], 0, v[14:15]
	v_mov_b32_e32 v20, 0x7ff00000
	v_add_f64 v[14:15], v[16:17], -v[26:27]
	v_mul_f64 v[10:11], v[4:5], v[10:11]
	v_cndmask_b32_e32 v19, v20, v19, vcc
	v_mov_b32_e32 v20, 0xfff00000
	s_and_b64 vcc, s[0:1], vcc
	v_cndmask_b32_e64 v17, v20, v19, s[0:1]
	v_cndmask_b32_e32 v16, 0, v18, vcc
	v_mul_f64 v[10:11], v[16:17], v[10:11]
	v_fma_f64 v[10:11], v[14:15], 0.5, -v[10:11]
	v_mul_f64 v[10:11], v[4:5], v[10:11]
                                        ; implicit-def: $vgpr4_vgpr5
.LBB7_100:
	s_andn2_saveexec_b64 s[0:1], s[8:9]
	s_cbranch_execz .LBB7_102
; %bb.101:
	s_mov_b32 s8, 0
	s_mov_b32 s9, 0x40200000
	v_div_scale_f64 v[10:11], s[10:11], v[4:5], v[4:5], s[8:9]
	v_rcp_f64_e32 v[14:15], v[10:11]
	v_fma_f64 v[16:17], -v[10:11], v[14:15], 1.0
	v_fma_f64 v[14:15], v[14:15], v[16:17], v[14:15]
	v_div_scale_f64 v[16:17], vcc, s[8:9], v[4:5], s[8:9]
	v_fma_f64 v[18:19], -v[10:11], v[14:15], 1.0
	v_fma_f64 v[14:15], v[14:15], v[18:19], v[14:15]
	v_mul_f64 v[18:19], v[16:17], v[14:15]
	v_fma_f64 v[10:11], -v[10:11], v[18:19], v[16:17]
	v_div_fmas_f64 v[10:11], v[10:11], v[14:15], v[18:19]
	v_mov_b32_e32 v14, 0x93812603
	v_mov_b32_e32 v15, 0xbc72fecc
	;; [unrolled: 1-line block ×3, first 2 shown]
	v_div_fixup_f64 v[10:11], v[10:11], v[4:5], s[8:9]
	s_mov_b32 s9, 0x3c5871a5
	s_mov_b32 s8, 0xcf8c9ee1
	v_add_f64 v[10:11], v[10:11], -2.0
	v_fma_f64 v[14:15], v[10:11], s[8:9], v[14:15]
	s_mov_b32 s9, 0xbc5871a5
	v_fma_f64 v[16:17], v[10:11], v[14:15], s[8:9]
	s_mov_b32 s8, 0x41a8cdf4
	s_mov_b32 s9, 0x3c8e092e
	v_add_f64 v[16:17], v[16:17], s[8:9]
	s_mov_b32 s8, 0x74d77641
	s_mov_b32 s9, 0xbca82f94
	v_fma_f64 v[14:15], v[10:11], v[16:17], -v[14:15]
	v_add_f64 v[14:15], v[14:15], s[8:9]
	s_mov_b32 s8, 0x6b94785b
	s_mov_b32 s9, 0x3cc3dbf9
	v_fma_f64 v[16:17], v[10:11], v[14:15], -v[16:17]
	;; [unrolled: 4-line block ×17, first 2 shown]
	v_add_f64 v[14:15], v[14:15], s[8:9]
	s_mov_b32 s8, 0
	s_brev_b32 s9, 8
	v_cmp_gt_f64_e32 vcc, s[8:9], v[4:5]
	s_mov_b32 s8, 0xcc7470a9
	s_mov_b32 s9, 0x3eed413f
	v_fma_f64 v[16:17], v[10:11], v[14:15], -v[16:17]
	v_cndmask_b32_e32 v18, 0, v18, vcc
	v_ldexp_f64 v[4:5], v[4:5], v18
	v_add_f64 v[16:17], v[16:17], s[8:9]
	s_mov_b32 s8, 0xe7889f42
	s_mov_b32 s9, 0xbf20d797
	v_rsq_f64_e32 v[18:19], v[4:5]
	v_fma_f64 v[14:15], v[10:11], v[16:17], -v[14:15]
	v_add_f64 v[14:15], v[14:15], s[8:9]
	s_mov_b32 s8, 0xfca79342
	s_mov_b32 s9, 0x3f59b891
	v_mul_f64 v[20:21], v[4:5], v[18:19]
	v_mul_f64 v[18:19], v[18:19], 0.5
	v_fma_f64 v[16:17], v[10:11], v[14:15], -v[16:17]
	v_fma_f64 v[22:23], -v[18:19], v[20:21], 0.5
	v_add_f64 v[16:17], v[16:17], s[8:9]
	s_mov_b32 s8, 0x2d4ff71e
	s_mov_b32 s9, 0xbfa019f7
	v_fma_f64 v[20:21], v[20:21], v[22:23], v[20:21]
	v_fma_f64 v[18:19], v[18:19], v[22:23], v[18:19]
	v_fma_f64 v[14:15], v[10:11], v[16:17], -v[14:15]
	v_fma_f64 v[22:23], -v[20:21], v[20:21], v[4:5]
	v_add_f64 v[14:15], v[14:15], s[8:9]
	s_mov_b32 s8, 0x9f4e6907
	s_mov_b32 s9, 0x400385bd
	v_fma_f64 v[20:21], v[22:23], v[18:19], v[20:21]
	v_fma_f64 v[10:11], v[10:11], v[14:15], -v[16:17]
	v_fma_f64 v[14:15], -v[20:21], v[20:21], v[4:5]
	v_add_f64 v[10:11], v[10:11], s[8:9]
	v_fma_f64 v[14:15], v[14:15], v[18:19], v[20:21]
	v_add_f64 v[10:11], v[10:11], -v[16:17]
	v_mov_b32_e32 v16, 0xffffff80
	v_mov_b32_e32 v17, 0x260
	v_cndmask_b32_e32 v16, 0, v16, vcc
	v_cmp_class_f64_e32 vcc, v[4:5], v17
	v_ldexp_f64 v[14:15], v[14:15], v16
	v_mul_f64 v[10:11], v[10:11], 0.5
	v_cndmask_b32_e32 v5, v15, v5, vcc
	v_cndmask_b32_e32 v4, v14, v4, vcc
	v_div_scale_f64 v[14:15], s[8:9], v[4:5], v[4:5], v[10:11]
	v_div_scale_f64 v[20:21], vcc, v[10:11], v[4:5], v[10:11]
	v_rcp_f64_e32 v[16:17], v[14:15]
	v_fma_f64 v[18:19], -v[14:15], v[16:17], 1.0
	v_fma_f64 v[16:17], v[16:17], v[18:19], v[16:17]
	v_fma_f64 v[18:19], -v[14:15], v[16:17], 1.0
	v_fma_f64 v[16:17], v[16:17], v[18:19], v[16:17]
	v_mul_f64 v[18:19], v[20:21], v[16:17]
	v_fma_f64 v[14:15], -v[14:15], v[18:19], v[20:21]
	v_div_fmas_f64 v[14:15], v[14:15], v[16:17], v[18:19]
	v_div_fixup_f64 v[10:11], v[14:15], v[4:5], v[10:11]
.LBB7_102:
	s_or_b64 exec, exec, s[0:1]
.LBB7_103:
	s_or_b64 exec, exec, s[6:7]
.LBB7_104:
	s_or_b64 exec, exec, s[2:3]
	global_store_dwordx2 v0, v[6:7], s[4:5]
	global_store_dwordx2 v1, v[8:9], s[4:5]
	;; [unrolled: 1-line block ×4, first 2 shown]
	s_endpgm
.LBB7_105:
	v_mov_b32_e32 v0, 0
	v_mov_b32_e32 v2, 0
	s_branch .LBB7_111
.LBB7_106:
	v_mov_b32_e32 v0, 0
	v_mov_b32_e32 v2, 0
	s_branch .LBB7_135
.LBB7_107:
	s_mov_b32 s57, 0
	v_mov_b32_e32 v0, 0
	v_mov_b32_e32 v2, 0
	;; [unrolled: 1-line block ×3, first 2 shown]
.LBB7_108:
	s_and_b32 s4, s58, 3
	s_cmp_eq_u32 s4, 0
	s_cbranch_scc1 .LBB7_111
; %bb.109:
	s_lshl_b32 s0, s57, 3
	s_add_u32 s0, s34, s0
	s_addc_u32 s1, s35, 0
	s_add_u32 s0, s0, 0xc4
	s_addc_u32 s1, s1, 0
	s_mul_i32 s2, s57, 12
	s_add_u32 s2, s34, s2
	s_addc_u32 s3, s35, 0
.LBB7_110:                              ; =>This Inner Loop Header: Depth=1
	s_load_dwordx2 s[6:7], s[2:3], 0x4
	s_load_dword s5, s[2:3], 0xc
	s_load_dwordx2 s[8:9], s[0:1], 0x0
	s_add_u32 s2, s2, 12
	s_addc_u32 s3, s3, 0
	s_waitcnt lgkmcnt(0)
	v_mul_hi_u32 v3, s7, v1
	s_add_u32 s0, s0, 8
	s_addc_u32 s1, s1, 0
	s_add_i32 s4, s4, -1
	v_add_u32_e32 v3, v1, v3
	v_lshrrev_b32_e32 v4, s5, v3
	v_mul_lo_u32 v3, v4, s6
	s_cmp_lg_u32 s4, 0
	v_sub_u32_e32 v3, v1, v3
	v_mad_u64_u32 v[0:1], s[6:7], v3, s8, v[0:1]
	v_mad_u64_u32 v[2:3], s[6:7], v3, s9, v[2:3]
	v_mov_b32_e32 v1, v4
	s_cbranch_scc1 .LBB7_110
.LBB7_111:
	s_cbranch_execnz .LBB7_114
.LBB7_112:
	s_waitcnt lgkmcnt(0)
	v_mul_hi_u32 v0, s25, v11
	s_andn2_b64 vcc, exec, s[42:43]
	v_add_u32_e32 v0, v11, v0
	v_lshrrev_b32_e32 v1, s26, v0
	v_mul_lo_u32 v0, v1, s24
	v_sub_u32_e32 v2, v11, v0
	v_mul_lo_u32 v0, v2, s20
	v_mul_lo_u32 v2, v2, s21
	s_cbranch_vccnz .LBB7_114
; %bb.113:
	v_mul_hi_u32 v3, s40, v1
	v_add_u32_e32 v3, v1, v3
	v_lshrrev_b32_e32 v3, s41, v3
	v_mul_lo_u32 v3, v3, s27
	v_sub_u32_e32 v3, v1, v3
	v_mad_u64_u32 v[0:1], s[0:1], v3, s22, v[0:1]
	v_mad_u64_u32 v[2:3], s[0:1], v3, s23, v[2:3]
.LBB7_114:
	s_waitcnt lgkmcnt(0)
	global_load_dwordx2 v[1:2], v2, s[18:19]
	v_mov_b32_e32 v3, 0
	v_mov_b32_e32 v4, 0x7ff00000
	s_waitcnt vmcnt(0)
	v_cmp_neq_f64_e32 vcc, 0, v[1:2]
	s_and_saveexec_b64 s[2:3], vcc
	s_cbranch_execz .LBB7_122
; %bb.115:
	v_cmp_ngt_f64_e32 vcc, 0, v[1:2]
	v_mov_b32_e32 v3, 0
	v_mov_b32_e32 v4, 0x7ff80000
	s_and_saveexec_b64 s[4:5], vcc
	s_cbranch_execz .LBB7_121
; %bb.116:
	v_cmp_ge_f64_e32 vcc, 2.0, v[1:2]
                                        ; implicit-def: $vgpr3_vgpr4
	s_and_saveexec_b64 s[0:1], vcc
	s_xor_b64 s[6:7], exec, s[0:1]
	s_cbranch_execz .LBB7_118
; %bb.117:
	v_fma_f64 v[3:4], v[1:2], 0.5, -2.0
	v_mov_b32_e32 v5, 0x977da589
	v_mov_b32_e32 v6, 0x3c833362
	s_mov_b32 s1, 0xbc545cb7
	s_mov_b32 s0, 0x2134d0ef
	;; [unrolled: 1-line block ×5, first 2 shown]
	v_fma_f64 v[5:6], v[3:4], s[0:1], v[5:6]
	s_mov_b32 s1, 0x3c545cb7
	s_mov_b32 s59, 0x3fd99999
	;; [unrolled: 1-line block ×7, first 2 shown]
	v_fma_f64 v[7:8], v[3:4], v[5:6], s[0:1]
	s_mov_b32 s0, 0x721ebbb4
	s_mov_b32 s1, 0xbcb184eb
	;; [unrolled: 1-line block ×7, first 2 shown]
	v_add_f64 v[7:8], v[7:8], s[0:1]
	s_mov_b32 s0, 0x93f65eba
	s_mov_b32 s1, 0x3cdee6d8
	;; [unrolled: 1-line block ×7, first 2 shown]
	v_fma_f64 v[5:6], v[3:4], v[7:8], -v[5:6]
	s_mov_b32 s13, 0x3f54b82e
	s_mov_b32 s10, 0x554a9085
	;; [unrolled: 1-line block ×3, first 2 shown]
	v_add_f64 v[5:6], v[5:6], s[0:1]
	s_mov_b32 s0, 0xc297fbeb
	s_mov_b32 s1, 0xbd0a5022
	v_fma_f64 v[7:8], v[3:4], v[5:6], -v[7:8]
	v_add_f64 v[7:8], v[7:8], s[0:1]
	s_mov_b32 s0, 0x4b262627
	s_mov_b32 s1, 0x3d359b46
	v_fma_f64 v[5:6], v[3:4], v[7:8], -v[5:6]
	;; [unrolled: 4-line block ×4, first 2 shown]
	v_add_f64 v[9:10], v[5:6], s[0:1]
	v_mul_f64 v[5:6], v[1:2], 0.5
	s_mov_b32 s1, 0x3fe55555
	s_mov_b32 s0, 0x55555555
	v_fma_f64 v[7:8], v[3:4], v[9:10], -v[7:8]
	v_frexp_mant_f64_e32 v[12:13], v[5:6]
	v_frexp_exp_i32_f64_e32 v32, v[5:6]
	v_add_f64 v[7:8], v[7:8], s[8:9]
	v_cmp_gt_f64_e32 vcc, s[0:1], v[12:13]
	s_mov_b32 s8, 0xcc743c10
	s_mov_b32 s9, 0x3dda98be
	;; [unrolled: 1-line block ×3, first 2 shown]
	v_fma_f64 v[9:10], v[3:4], v[7:8], -v[9:10]
	v_cndmask_b32_e64 v14, 0, 1, vcc
	v_ldexp_f64 v[12:13], v[12:13], v14
	v_subbrev_co_u32_e32 v32, vcc, 0, v32, vcc
	v_cvt_f64_i32_e32 v[32:33], v32
	v_add_f64 v[9:10], v[9:10], s[8:9]
	s_mov_b32 s8, 0x13ae9556
	v_add_f64 v[14:15], v[12:13], 1.0
	s_mov_b32 s9, 0xbe01d4fe
	v_add_f64 v[20:21], v[12:13], -1.0
	v_mul_f64 v[34:35], v[32:33], s[60:61]
	v_fma_f64 v[7:8], v[3:4], v[9:10], -v[7:8]
	v_rcp_f64_e32 v[16:17], v[14:15]
	v_add_f64 v[22:23], v[14:15], -1.0
	v_add_f64 v[7:8], v[7:8], s[8:9]
	s_mov_b32 s8, 0xa454cb34
	s_mov_b32 s9, 0x3e26d903
	v_add_f64 v[12:13], v[12:13], -v[22:23]
	v_fma_f64 v[9:10], v[3:4], v[7:8], -v[9:10]
	v_fma_f64 v[18:19], -v[14:15], v[16:17], 1.0
	v_fma_f64 v[16:17], v[18:19], v[16:17], v[16:17]
	v_add_f64 v[18:19], v[9:10], s[8:9]
	s_mov_b32 s8, 0x8c0b30ab
	s_mov_b32 s9, 0xbe4beaf6
	v_fma_f64 v[9:10], -v[14:15], v[16:17], 1.0
	v_fma_f64 v[7:8], v[3:4], v[18:19], -v[7:8]
	v_fma_f64 v[16:17], v[9:10], v[16:17], v[16:17]
	v_add_f64 v[7:8], v[7:8], s[8:9]
	s_mov_b32 s8, 0x9d4d6435
	s_mov_b32 s9, 0x3e703b76
	v_mul_f64 v[9:10], v[20:21], v[16:17]
	v_fma_f64 v[18:19], v[3:4], v[7:8], -v[18:19]
	v_mul_f64 v[24:25], v[14:15], v[9:10]
	v_add_f64 v[18:19], v[18:19], s[8:9]
	s_mov_b32 s8, 0x8f227f8d
	s_mov_b32 s9, 0xbe91ec63
	v_fma_f64 v[14:15], v[9:10], v[14:15], -v[24:25]
	v_fma_f64 v[7:8], v[3:4], v[18:19], -v[7:8]
	v_fma_f64 v[12:13], v[9:10], v[12:13], v[14:15]
	v_add_f64 v[7:8], v[7:8], s[8:9]
	s_mov_b32 s8, 0x978cf4ac
	s_mov_b32 s9, 0x3eb2bf24
	v_add_f64 v[14:15], v[24:25], v[12:13]
	v_fma_f64 v[18:19], v[3:4], v[7:8], -v[18:19]
	v_add_f64 v[22:23], v[20:21], -v[14:15]
	v_add_f64 v[18:19], v[18:19], s[8:9]
	v_add_f64 v[24:25], v[14:15], -v[24:25]
	s_mov_b32 s8, 0xcba56427
	s_mov_b32 s9, 0xbed2866f
	v_add_f64 v[20:21], v[20:21], -v[22:23]
	v_fma_f64 v[7:8], v[3:4], v[18:19], -v[7:8]
	v_add_f64 v[12:13], v[24:25], -v[12:13]
	v_mov_b32_e32 v24, 0x6b47b09a
	v_mov_b32_e32 v25, 0x3fc38538
	v_add_f64 v[14:15], v[20:21], -v[14:15]
	v_add_f64 v[7:8], v[7:8], s[8:9]
	s_mov_b32 s8, 0xbe9a2859
	s_mov_b32 s9, 0x3ef13f58
	v_add_f64 v[12:13], v[12:13], v[14:15]
	v_fma_f64 v[14:15], v[3:4], v[7:8], -v[18:19]
	v_mov_b32_e32 v18, 0xc384c2aa
	v_mov_b32_e32 v19, 0x3d27fb0a
	v_add_f64 v[12:13], v[22:23], v[12:13]
	v_add_f64 v[14:15], v[14:15], s[8:9]
	s_mov_b32 s8, 0x59c41d5a
	s_mov_b32 s9, 0xbf0e2b26
	v_mul_f64 v[12:13], v[16:17], v[12:13]
	v_fma_f64 v[16:17], v[3:4], v[14:15], -v[7:8]
	v_fma_f64 v[7:8], v[1:2], v[1:2], -2.0
	v_add_f64 v[20:21], v[9:10], v[12:13]
	v_add_f64 v[16:17], v[16:17], s[8:9]
	s_mov_b32 s8, 0xbf559e2b
	s_mov_b32 s9, 0x3fc3ab76
	v_fma_f64 v[18:19], v[7:8], s[50:51], v[18:19]
	s_mov_b32 s51, 0xbca3cee1
	v_mul_f64 v[22:23], v[20:21], v[20:21]
	v_fma_f64 v[14:15], v[3:4], v[16:17], -v[14:15]
	v_ldexp_f64 v[28:29], v[20:21], 1
	v_add_f64 v[9:10], v[20:21], -v[9:10]
	v_fma_f64 v[30:31], v[7:8], v[18:19], s[50:51]
	s_mov_b32 s50, 0xf121b6f0
	s_mov_b32 s51, 0xbf984e9e
	v_fma_f64 v[24:25], v[22:23], s[8:9], v[24:25]
	s_mov_b32 s8, 0x74107cab
	s_mov_b32 s9, 0x3f28b51b
	v_add_f64 v[14:15], v[14:15], s[8:9]
	s_mov_b32 s8, 0xd7f4df2e
	s_mov_b32 s9, 0x3fc7474d
	v_mul_f64 v[26:27], v[20:21], v[22:23]
	v_add_f64 v[30:31], v[30:31], s[52:53]
	v_fma_f64 v[24:25], v[22:23], v[24:25], s[8:9]
	s_mov_b32 s8, 0x16291751
	s_mov_b32 s9, 0x3fcc71c0
	v_fma_f64 v[16:17], v[3:4], v[14:15], -v[16:17]
	v_add_f64 v[12:13], v[12:13], -v[9:10]
	v_fma_f64 v[18:19], v[7:8], v[30:31], -v[18:19]
	v_fma_f64 v[24:25], v[22:23], v[24:25], s[8:9]
	s_mov_b32 s8, 0x1f15eb52
	s_mov_b32 s9, 0xbf42e2fd
	v_add_f64 v[16:17], v[16:17], s[8:9]
	s_mov_b32 s8, 0x9b27acf1
	s_mov_b32 s9, 0x3fd24924
	v_ldexp_f64 v[12:13], v[12:13], 1
	v_add_f64 v[18:19], v[18:19], s[30:31]
	v_fma_f64 v[24:25], v[22:23], v[24:25], s[8:9]
	s_mov_b32 s30, 0x623fde64
	s_mov_b32 s31, 0x3ec71dee
	v_fma_f64 v[14:15], v[3:4], v[16:17], -v[14:15]
	s_mov_b32 s8, 0x81213db9
	s_mov_b32 s9, 0x3fd608d8
	v_fma_f64 v[30:31], v[7:8], v[18:19], -v[30:31]
	v_fma_f64 v[24:25], v[22:23], v[24:25], s[58:59]
	s_mov_b32 s58, 0x8a12100e
	s_mov_b32 s59, 0x3f5adc75
	v_add_f64 v[14:15], v[14:15], s[58:59]
	s_mov_b32 s58, 0x652b82fe
	s_mov_b32 s59, 0x3ff71547
	v_add_f64 v[30:31], v[30:31], s[28:29]
	v_fma_f64 v[22:23], v[22:23], v[24:25], s[0:1]
	s_mov_b32 s0, 0x201aa849
	s_mov_b32 s1, 0xbf71b65e
	v_fma_f64 v[16:17], v[3:4], v[14:15], -v[16:17]
	v_mov_b32_e32 v24, 0xfca7ab0c
	v_mov_b32_e32 v25, 0x3e928af3
	s_mov_b32 s28, 0x14761f6e
	v_fma_f64 v[18:19], v[7:8], v[30:31], -v[18:19]
	v_mul_f64 v[22:23], v[26:27], v[22:23]
	v_mul_f64 v[26:27], v[1:2], s[58:59]
	s_mov_b32 s29, 0x3f2a01a0
	v_add_f64 v[16:17], v[16:17], s[0:1]
	s_mov_b32 s0, 0xf3dde3dd
	s_mov_b32 s1, 0x3f859961
	v_add_f64 v[18:19], v[18:19], s[14:15]
	v_add_f64 v[20:21], v[28:29], v[22:23]
	v_rndne_f64_e32 v[9:10], v[26:27]
	v_fma_f64 v[26:27], v[32:33], s[60:61], -v[34:35]
	v_fma_f64 v[14:15], v[3:4], v[16:17], -v[14:15]
	s_mov_b32 s61, 0xbfe62e42
	s_mov_b32 s14, 0x77ac88c0
	;; [unrolled: 1-line block ×3, first 2 shown]
	v_add_f64 v[28:29], v[20:21], -v[28:29]
	v_fma_f64 v[1:2], v[9:10], s[60:61], v[1:2]
	v_fma_f64 v[26:27], v[32:33], s[62:63], v[26:27]
	v_add_f64 v[14:15], v[14:15], s[0:1]
	s_mov_b32 s63, 0xbc7abc9e
	s_mov_b32 s0, 0x6a5dcb37
	;; [unrolled: 1-line block ×3, first 2 shown]
	v_add_f64 v[22:23], v[22:23], -v[28:29]
	v_fma_f64 v[1:2], v[9:10], s[62:63], v[1:2]
	v_fma_f64 v[16:17], v[3:4], v[14:15], -v[16:17]
	v_add_f64 v[12:13], v[12:13], v[22:23]
	v_add_f64 v[22:23], v[34:35], v[26:27]
	v_fma_f64 v[24:25], v[1:2], s[0:1], v[24:25]
	v_add_f64 v[16:17], v[16:17], s[50:51]
	s_mov_b32 s50, 0xcea8a32d
	s_mov_b32 s51, 0x3fa93e8a
	;; [unrolled: 1-line block ×4, first 2 shown]
	v_add_f64 v[28:29], v[20:21], v[12:13]
	v_add_f64 v[34:35], v[22:23], -v[34:35]
	v_fma_f64 v[24:25], v[1:2], v[24:25], s[30:31]
	v_fma_f64 v[14:15], v[3:4], v[16:17], -v[14:15]
	s_mov_b32 s30, 0x1852b7b0
	s_mov_b32 s31, 0x3f56c16c
	v_add_f64 v[32:33], v[22:23], v[28:29]
	v_add_f64 v[20:21], v[28:29], -v[20:21]
	v_fma_f64 v[24:25], v[1:2], v[24:25], s[0:1]
	v_add_f64 v[14:15], v[14:15], s[50:51]
	s_mov_b32 s0, 0x342d06ea
	s_mov_b32 s1, 0xbfb84b70
	v_add_f64 v[26:27], v[26:27], -v[34:35]
	v_add_f64 v[36:37], v[32:33], -v[22:23]
	;; [unrolled: 1-line block ×3, first 2 shown]
	v_fma_f64 v[24:25], v[1:2], v[24:25], s[28:29]
	v_fma_f64 v[16:17], v[3:4], v[14:15], -v[16:17]
	v_add_f64 v[38:39], v[32:33], -v[36:37]
	v_add_f64 v[20:21], v[28:29], -v[36:37]
	v_fma_f64 v[28:29], v[7:8], v[18:19], -v[30:31]
	v_add_f64 v[16:17], v[16:17], s[0:1]
	v_fma_f64 v[24:25], v[1:2], v[24:25], s[30:31]
	s_mov_b32 s0, 0x11122322
	s_mov_b32 s1, 0x3f811111
	v_add_f64 v[30:31], v[26:27], v[12:13]
	v_add_f64 v[22:23], v[22:23], -v[38:39]
	v_fma_f64 v[14:15], v[3:4], v[16:17], -v[14:15]
	v_fma_f64 v[24:25], v[1:2], v[24:25], s[0:1]
	s_mov_b32 s0, 0x555502a1
	s_mov_b32 s1, 0x3fa55555
	v_add_f64 v[20:21], v[20:21], v[22:23]
	v_add_f64 v[22:23], v[28:29], s[12:13]
	s_mov_b32 s12, 0x55555511
	v_add_f64 v[14:15], v[14:15], s[14:15]
	v_fma_f64 v[24:25], v[1:2], v[24:25], s[0:1]
	v_add_f64 v[28:29], v[30:31], -v[26:27]
	s_mov_b32 s0, 0xc057cd8d
	s_mov_b32 s13, 0x3fc55555
	v_add_f64 v[20:21], v[30:31], v[20:21]
	v_fma_f64 v[18:19], v[7:8], v[22:23], -v[18:19]
	s_mov_b32 s1, 0xbfd37feb
	v_fma_f64 v[16:17], v[3:4], v[14:15], -v[16:17]
	v_fma_f64 v[24:25], v[1:2], v[24:25], s[12:13]
	v_add_f64 v[30:31], v[30:31], -v[28:29]
	v_add_f64 v[12:13], v[12:13], -v[28:29]
	v_add_f64 v[34:35], v[32:33], v[20:21]
	v_add_f64 v[18:19], v[18:19], s[10:11]
	;; [unrolled: 1-line block ×3, first 2 shown]
	s_mov_b32 s0, 11
	s_mov_b32 s1, 0x3fe00000
	v_fma_f64 v[24:25], v[1:2], v[24:25], s[0:1]
	v_add_f64 v[26:27], v[26:27], -v[30:31]
	v_add_f64 v[28:29], v[34:35], -v[32:33]
	v_fma_f64 v[22:23], v[7:8], v[18:19], -v[22:23]
	s_mov_b32 s0, 0x9035a22a
	v_fma_f64 v[3:4], v[3:4], v[16:17], -v[14:15]
	s_mov_b32 s1, 0x3fe5a84e
	v_add_f64 v[12:13], v[12:13], v[26:27]
	v_add_f64 v[16:17], v[20:21], -v[28:29]
	v_add_f64 v[20:21], v[22:23], s[8:9]
	v_fma_f64 v[22:23], v[1:2], v[24:25], 1.0
	v_add_f64 v[3:4], v[3:4], s[0:1]
	s_mov_b32 s0, 0xe9d2f61f
	s_mov_b32 s1, 0xbfe12166
	v_add_f64 v[12:13], v[12:13], v[16:17]
	v_fma_f64 v[7:8], v[7:8], v[20:21], -v[18:19]
	v_fma_f64 v[1:2], v[1:2], v[22:23], 1.0
	v_add_f64 v[3:4], v[3:4], -v[14:15]
	v_cvt_i32_f64_e32 v14, v[9:10]
	v_add_f64 v[9:10], v[34:35], v[12:13]
	v_add_f64 v[7:8], v[7:8], s[0:1]
	v_ldexp_f64 v[1:2], v[1:2], v14
	v_mul_f64 v[3:4], v[3:4], 0.5
	s_mov_b32 s0, 0
	s_mov_b32 s1, 0x7ff00000
	v_cmp_neq_f64_e32 vcc, s[0:1], v[5:6]
	v_cmp_neq_f64_e64 s[0:1], 0, v[5:6]
	v_mov_b32_e32 v12, 0x7ff00000
	v_add_f64 v[5:6], v[7:8], -v[18:19]
	v_mul_f64 v[3:4], v[1:2], v[3:4]
	v_cndmask_b32_e32 v10, v12, v10, vcc
	v_mov_b32_e32 v12, 0xfff00000
	s_and_b64 vcc, s[0:1], vcc
	v_cndmask_b32_e64 v8, v12, v10, s[0:1]
	v_cndmask_b32_e32 v7, 0, v9, vcc
	v_mul_f64 v[3:4], v[7:8], v[3:4]
	v_fma_f64 v[3:4], v[5:6], 0.5, -v[3:4]
	v_mul_f64 v[3:4], v[1:2], v[3:4]
                                        ; implicit-def: $vgpr1_vgpr2
.LBB7_118:
	s_andn2_saveexec_b64 s[0:1], s[6:7]
	s_cbranch_execz .LBB7_120
; %bb.119:
	s_mov_b32 s6, 0
	s_mov_b32 s7, 0x40200000
	v_div_scale_f64 v[3:4], s[8:9], v[1:2], v[1:2], s[6:7]
	v_rcp_f64_e32 v[5:6], v[3:4]
	v_fma_f64 v[7:8], -v[3:4], v[5:6], 1.0
	v_fma_f64 v[5:6], v[5:6], v[7:8], v[5:6]
	v_div_scale_f64 v[7:8], vcc, s[6:7], v[1:2], s[6:7]
	v_fma_f64 v[9:10], -v[3:4], v[5:6], 1.0
	v_fma_f64 v[5:6], v[5:6], v[9:10], v[5:6]
	v_mul_f64 v[9:10], v[7:8], v[5:6]
	v_fma_f64 v[3:4], -v[3:4], v[9:10], v[7:8]
	v_div_fmas_f64 v[3:4], v[3:4], v[5:6], v[9:10]
	v_mov_b32_e32 v5, 0x93812603
	v_mov_b32_e32 v6, 0xbc72fecc
	;; [unrolled: 1-line block ×3, first 2 shown]
	v_div_fixup_f64 v[3:4], v[3:4], v[1:2], s[6:7]
	s_mov_b32 s7, 0x3c5871a5
	s_mov_b32 s6, 0xcf8c9ee1
	v_add_f64 v[3:4], v[3:4], -2.0
	v_fma_f64 v[5:6], v[3:4], s[6:7], v[5:6]
	s_mov_b32 s7, 0xbc5871a5
	v_fma_f64 v[7:8], v[3:4], v[5:6], s[6:7]
	s_mov_b32 s6, 0x41a8cdf4
	s_mov_b32 s7, 0x3c8e092e
	v_add_f64 v[7:8], v[7:8], s[6:7]
	s_mov_b32 s6, 0x74d77641
	s_mov_b32 s7, 0xbca82f94
	v_fma_f64 v[5:6], v[3:4], v[7:8], -v[5:6]
	v_add_f64 v[5:6], v[5:6], s[6:7]
	s_mov_b32 s6, 0x6b94785b
	s_mov_b32 s7, 0x3cc3dbf9
	v_fma_f64 v[7:8], v[3:4], v[5:6], -v[7:8]
	;; [unrolled: 4-line block ×17, first 2 shown]
	v_add_f64 v[5:6], v[5:6], s[6:7]
	s_mov_b32 s6, 0
	s_brev_b32 s7, 8
	v_cmp_gt_f64_e32 vcc, s[6:7], v[1:2]
	s_mov_b32 s6, 0xcc7470a9
	s_mov_b32 s7, 0x3eed413f
	v_fma_f64 v[7:8], v[3:4], v[5:6], -v[7:8]
	v_cndmask_b32_e32 v9, 0, v9, vcc
	v_ldexp_f64 v[1:2], v[1:2], v9
	v_add_f64 v[7:8], v[7:8], s[6:7]
	s_mov_b32 s6, 0xe7889f42
	s_mov_b32 s7, 0xbf20d797
	v_rsq_f64_e32 v[9:10], v[1:2]
	v_fma_f64 v[5:6], v[3:4], v[7:8], -v[5:6]
	v_add_f64 v[5:6], v[5:6], s[6:7]
	s_mov_b32 s6, 0xfca79342
	s_mov_b32 s7, 0x3f59b891
	v_mul_f64 v[12:13], v[1:2], v[9:10]
	v_mul_f64 v[9:10], v[9:10], 0.5
	v_fma_f64 v[7:8], v[3:4], v[5:6], -v[7:8]
	v_fma_f64 v[14:15], -v[9:10], v[12:13], 0.5
	v_add_f64 v[7:8], v[7:8], s[6:7]
	s_mov_b32 s6, 0x2d4ff71e
	s_mov_b32 s7, 0xbfa019f7
	v_fma_f64 v[12:13], v[12:13], v[14:15], v[12:13]
	v_fma_f64 v[9:10], v[9:10], v[14:15], v[9:10]
	v_fma_f64 v[5:6], v[3:4], v[7:8], -v[5:6]
	v_fma_f64 v[14:15], -v[12:13], v[12:13], v[1:2]
	v_add_f64 v[5:6], v[5:6], s[6:7]
	s_mov_b32 s6, 0x9f4e6907
	s_mov_b32 s7, 0x400385bd
	v_fma_f64 v[12:13], v[14:15], v[9:10], v[12:13]
	v_fma_f64 v[3:4], v[3:4], v[5:6], -v[7:8]
	v_fma_f64 v[5:6], -v[12:13], v[12:13], v[1:2]
	v_add_f64 v[3:4], v[3:4], s[6:7]
	v_fma_f64 v[5:6], v[5:6], v[9:10], v[12:13]
	v_add_f64 v[3:4], v[3:4], -v[7:8]
	v_mov_b32_e32 v7, 0xffffff80
	v_mov_b32_e32 v8, 0x260
	v_cndmask_b32_e32 v7, 0, v7, vcc
	v_cmp_class_f64_e32 vcc, v[1:2], v8
	v_ldexp_f64 v[5:6], v[5:6], v7
	v_mul_f64 v[3:4], v[3:4], 0.5
	v_cndmask_b32_e32 v2, v6, v2, vcc
	v_cndmask_b32_e32 v1, v5, v1, vcc
	v_div_scale_f64 v[5:6], s[6:7], v[1:2], v[1:2], v[3:4]
	v_div_scale_f64 v[12:13], vcc, v[3:4], v[1:2], v[3:4]
	v_rcp_f64_e32 v[7:8], v[5:6]
	v_fma_f64 v[9:10], -v[5:6], v[7:8], 1.0
	v_fma_f64 v[7:8], v[7:8], v[9:10], v[7:8]
	v_fma_f64 v[9:10], -v[5:6], v[7:8], 1.0
	v_fma_f64 v[7:8], v[7:8], v[9:10], v[7:8]
	v_mul_f64 v[9:10], v[12:13], v[7:8]
	v_fma_f64 v[5:6], -v[5:6], v[9:10], v[12:13]
	v_div_fmas_f64 v[5:6], v[5:6], v[7:8], v[9:10]
	v_div_fixup_f64 v[3:4], v[5:6], v[1:2], v[3:4]
.LBB7_120:
	s_or_b64 exec, exec, s[0:1]
.LBB7_121:
	s_or_b64 exec, exec, s[4:5]
.LBB7_122:
	s_or_b64 exec, exec, s[2:3]
	v_add_u32_e32 v11, 0x80, v11
	global_store_dwordx2 v0, v[3:4], s[16:17]
	s_or_b64 exec, exec, s[48:49]
	v_cmp_gt_i32_e32 vcc, s55, v11
	s_and_saveexec_b64 s[48:49], vcc
	s_cbranch_execnz .LBB7_15
.LBB7_123:
	s_or_b64 exec, exec, s[48:49]
	v_cmp_gt_i32_e32 vcc, s55, v11
	s_and_saveexec_b64 s[48:49], vcc
	s_cbranch_execz .LBB7_147
.LBB7_124:
	s_andn2_b64 vcc, exec, s[36:37]
	s_cbranch_vccnz .LBB7_129
; %bb.125:
	s_andn2_b64 vcc, exec, s[46:47]
	s_cbranch_vccnz .LBB7_130
; %bb.126:
	s_add_i32 s58, s56, 1
	s_cmp_eq_u32 s54, 2
	s_cbranch_scc1 .LBB7_150
; %bb.127:
	s_and_b32 s57, s58, 28
	v_mov_b32_e32 v2, 0
	s_mov_b32 s59, 0
	s_mov_b64 s[50:51], s[34:35]
	s_mov_b64 s[52:53], s[44:45]
	v_mov_b32_e32 v0, 0
	v_mov_b32_e32 v1, v11
.LBB7_128:                              ; =>This Inner Loop Header: Depth=1
	s_load_dwordx8 s[8:15], s[50:51], 0x4
	s_load_dwordx4 s[28:31], s[50:51], 0x24
	s_load_dwordx8 s[0:7], s[52:53], 0x0
	s_add_u32 s50, s50, 48
	s_addc_u32 s51, s51, 0
	s_waitcnt lgkmcnt(0)
	v_mul_hi_u32 v3, s9, v1
	s_add_i32 s59, s59, 4
	s_add_u32 s52, s52, 32
	s_addc_u32 s53, s53, 0
	v_add_u32_e32 v3, v1, v3
	v_lshrrev_b32_e32 v3, s10, v3
	v_mul_lo_u32 v4, v3, s8
	v_mul_hi_u32 v5, s12, v3
	s_cmp_eq_u32 s57, s59
	v_sub_u32_e32 v1, v1, v4
	v_add_u32_e32 v4, v3, v5
	v_mul_lo_u32 v5, v1, s0
	v_mul_lo_u32 v6, v1, s1
	v_lshrrev_b32_e32 v1, s13, v4
	v_mul_lo_u32 v4, v1, s11
	v_mul_hi_u32 v7, s15, v1
	v_sub_u32_e32 v3, v3, v4
	v_add_u32_e32 v4, v1, v7
	v_lshrrev_b32_e32 v4, s28, v4
	v_mul_hi_u32 v8, s30, v4
	v_mul_lo_u32 v9, v4, s14
	v_mul_lo_u32 v7, v3, s2
	;; [unrolled: 1-line block ×3, first 2 shown]
	v_sub_u32_e32 v9, v1, v9
	v_add_u32_e32 v1, v4, v8
	v_lshrrev_b32_e32 v1, s31, v1
	v_mul_lo_u32 v8, v1, s29
	v_mul_lo_u32 v10, v9, s4
	v_mul_lo_u32 v9, v9, s5
	v_add3_u32 v0, v5, v0, v7
	v_sub_u32_e32 v4, v4, v8
	v_mul_lo_u32 v8, v4, s6
	v_mul_lo_u32 v4, v4, s7
	v_add3_u32 v2, v6, v2, v3
	v_add3_u32 v0, v10, v0, v8
	;; [unrolled: 1-line block ×3, first 2 shown]
	s_cbranch_scc0 .LBB7_128
	s_branch .LBB7_151
.LBB7_129:
                                        ; implicit-def: $vgpr0
                                        ; implicit-def: $vgpr2
	s_branch .LBB7_155
.LBB7_130:
	v_mov_b32_e32 v0, 0
	v_mov_b32_e32 v2, 0
	s_branch .LBB7_154
.LBB7_131:
	s_mov_b32 s57, 0
	v_mov_b32_e32 v0, 0
	v_mov_b32_e32 v2, 0
	;; [unrolled: 1-line block ×3, first 2 shown]
.LBB7_132:
	s_and_b32 s4, s58, 3
	s_cmp_eq_u32 s4, 0
	s_cbranch_scc1 .LBB7_135
; %bb.133:
	s_lshl_b32 s0, s57, 3
	s_add_u32 s0, s34, s0
	s_addc_u32 s1, s35, 0
	s_add_u32 s0, s0, 0xc4
	s_addc_u32 s1, s1, 0
	s_mul_i32 s2, s57, 12
	s_add_u32 s2, s34, s2
	s_addc_u32 s3, s35, 0
.LBB7_134:                              ; =>This Inner Loop Header: Depth=1
	s_load_dwordx2 s[6:7], s[2:3], 0x4
	s_load_dword s5, s[2:3], 0xc
	s_load_dwordx2 s[8:9], s[0:1], 0x0
	s_add_u32 s2, s2, 12
	s_addc_u32 s3, s3, 0
	s_waitcnt lgkmcnt(0)
	v_mul_hi_u32 v3, s7, v1
	s_add_u32 s0, s0, 8
	s_addc_u32 s1, s1, 0
	s_add_i32 s4, s4, -1
	v_add_u32_e32 v3, v1, v3
	v_lshrrev_b32_e32 v4, s5, v3
	v_mul_lo_u32 v3, v4, s6
	s_cmp_lg_u32 s4, 0
	v_sub_u32_e32 v3, v1, v3
	v_mad_u64_u32 v[0:1], s[6:7], v3, s8, v[0:1]
	v_mad_u64_u32 v[2:3], s[6:7], v3, s9, v[2:3]
	v_mov_b32_e32 v1, v4
	s_cbranch_scc1 .LBB7_134
.LBB7_135:
	s_cbranch_execnz .LBB7_138
.LBB7_136:
	s_waitcnt lgkmcnt(0)
	v_mul_hi_u32 v0, s25, v11
	s_andn2_b64 vcc, exec, s[42:43]
	v_add_u32_e32 v0, v11, v0
	v_lshrrev_b32_e32 v1, s26, v0
	v_mul_lo_u32 v0, v1, s24
	v_sub_u32_e32 v2, v11, v0
	v_mul_lo_u32 v0, v2, s20
	v_mul_lo_u32 v2, v2, s21
	s_cbranch_vccnz .LBB7_138
; %bb.137:
	v_mul_hi_u32 v3, s40, v1
	v_add_u32_e32 v3, v1, v3
	v_lshrrev_b32_e32 v3, s41, v3
	v_mul_lo_u32 v3, v3, s27
	v_sub_u32_e32 v3, v1, v3
	v_mad_u64_u32 v[0:1], s[0:1], v3, s22, v[0:1]
	v_mad_u64_u32 v[2:3], s[0:1], v3, s23, v[2:3]
.LBB7_138:
	s_waitcnt lgkmcnt(0)
	global_load_dwordx2 v[1:2], v2, s[18:19]
	v_mov_b32_e32 v3, 0
	v_mov_b32_e32 v4, 0x7ff00000
	s_waitcnt vmcnt(0)
	v_cmp_neq_f64_e32 vcc, 0, v[1:2]
	s_and_saveexec_b64 s[2:3], vcc
	s_cbranch_execz .LBB7_146
; %bb.139:
	v_cmp_ngt_f64_e32 vcc, 0, v[1:2]
	v_mov_b32_e32 v3, 0
	v_mov_b32_e32 v4, 0x7ff80000
	s_and_saveexec_b64 s[4:5], vcc
	s_cbranch_execz .LBB7_145
; %bb.140:
	v_cmp_ge_f64_e32 vcc, 2.0, v[1:2]
                                        ; implicit-def: $vgpr3_vgpr4
	s_and_saveexec_b64 s[0:1], vcc
	s_xor_b64 s[6:7], exec, s[0:1]
	s_cbranch_execz .LBB7_142
; %bb.141:
	v_fma_f64 v[3:4], v[1:2], 0.5, -2.0
	v_mov_b32_e32 v5, 0x977da589
	v_mov_b32_e32 v6, 0x3c833362
	s_mov_b32 s1, 0xbc545cb7
	s_mov_b32 s0, 0x2134d0ef
	;; [unrolled: 1-line block ×5, first 2 shown]
	v_fma_f64 v[5:6], v[3:4], s[0:1], v[5:6]
	s_mov_b32 s1, 0x3c545cb7
	s_mov_b32 s59, 0x3fd99999
	;; [unrolled: 1-line block ×7, first 2 shown]
	v_fma_f64 v[7:8], v[3:4], v[5:6], s[0:1]
	s_mov_b32 s0, 0x721ebbb4
	s_mov_b32 s1, 0xbcb184eb
	;; [unrolled: 1-line block ×7, first 2 shown]
	v_add_f64 v[7:8], v[7:8], s[0:1]
	s_mov_b32 s0, 0x93f65eba
	s_mov_b32 s1, 0x3cdee6d8
	;; [unrolled: 1-line block ×7, first 2 shown]
	v_fma_f64 v[5:6], v[3:4], v[7:8], -v[5:6]
	s_mov_b32 s13, 0x3f54b82e
	s_mov_b32 s10, 0x554a9085
	;; [unrolled: 1-line block ×3, first 2 shown]
	v_add_f64 v[5:6], v[5:6], s[0:1]
	s_mov_b32 s0, 0xc297fbeb
	s_mov_b32 s1, 0xbd0a5022
	v_fma_f64 v[7:8], v[3:4], v[5:6], -v[7:8]
	v_add_f64 v[7:8], v[7:8], s[0:1]
	s_mov_b32 s0, 0x4b262627
	s_mov_b32 s1, 0x3d359b46
	v_fma_f64 v[5:6], v[3:4], v[7:8], -v[5:6]
	;; [unrolled: 4-line block ×4, first 2 shown]
	v_add_f64 v[9:10], v[5:6], s[0:1]
	v_mul_f64 v[5:6], v[1:2], 0.5
	s_mov_b32 s1, 0x3fe55555
	s_mov_b32 s0, 0x55555555
	v_fma_f64 v[7:8], v[3:4], v[9:10], -v[7:8]
	v_frexp_mant_f64_e32 v[12:13], v[5:6]
	v_frexp_exp_i32_f64_e32 v32, v[5:6]
	v_add_f64 v[7:8], v[7:8], s[8:9]
	v_cmp_gt_f64_e32 vcc, s[0:1], v[12:13]
	s_mov_b32 s8, 0xcc743c10
	s_mov_b32 s9, 0x3dda98be
	;; [unrolled: 1-line block ×3, first 2 shown]
	v_fma_f64 v[9:10], v[3:4], v[7:8], -v[9:10]
	v_cndmask_b32_e64 v14, 0, 1, vcc
	v_ldexp_f64 v[12:13], v[12:13], v14
	v_subbrev_co_u32_e32 v32, vcc, 0, v32, vcc
	v_cvt_f64_i32_e32 v[32:33], v32
	v_add_f64 v[9:10], v[9:10], s[8:9]
	s_mov_b32 s8, 0x13ae9556
	v_add_f64 v[14:15], v[12:13], 1.0
	s_mov_b32 s9, 0xbe01d4fe
	v_add_f64 v[20:21], v[12:13], -1.0
	v_mul_f64 v[34:35], v[32:33], s[60:61]
	v_fma_f64 v[7:8], v[3:4], v[9:10], -v[7:8]
	v_rcp_f64_e32 v[16:17], v[14:15]
	v_add_f64 v[22:23], v[14:15], -1.0
	v_add_f64 v[7:8], v[7:8], s[8:9]
	s_mov_b32 s8, 0xa454cb34
	s_mov_b32 s9, 0x3e26d903
	v_add_f64 v[12:13], v[12:13], -v[22:23]
	v_fma_f64 v[9:10], v[3:4], v[7:8], -v[9:10]
	v_fma_f64 v[18:19], -v[14:15], v[16:17], 1.0
	v_fma_f64 v[16:17], v[18:19], v[16:17], v[16:17]
	v_add_f64 v[18:19], v[9:10], s[8:9]
	s_mov_b32 s8, 0x8c0b30ab
	s_mov_b32 s9, 0xbe4beaf6
	v_fma_f64 v[9:10], -v[14:15], v[16:17], 1.0
	v_fma_f64 v[7:8], v[3:4], v[18:19], -v[7:8]
	v_fma_f64 v[16:17], v[9:10], v[16:17], v[16:17]
	v_add_f64 v[7:8], v[7:8], s[8:9]
	s_mov_b32 s8, 0x9d4d6435
	s_mov_b32 s9, 0x3e703b76
	v_mul_f64 v[9:10], v[20:21], v[16:17]
	v_fma_f64 v[18:19], v[3:4], v[7:8], -v[18:19]
	v_mul_f64 v[24:25], v[14:15], v[9:10]
	v_add_f64 v[18:19], v[18:19], s[8:9]
	s_mov_b32 s8, 0x8f227f8d
	s_mov_b32 s9, 0xbe91ec63
	v_fma_f64 v[14:15], v[9:10], v[14:15], -v[24:25]
	v_fma_f64 v[7:8], v[3:4], v[18:19], -v[7:8]
	v_fma_f64 v[12:13], v[9:10], v[12:13], v[14:15]
	v_add_f64 v[7:8], v[7:8], s[8:9]
	s_mov_b32 s8, 0x978cf4ac
	s_mov_b32 s9, 0x3eb2bf24
	v_add_f64 v[14:15], v[24:25], v[12:13]
	v_fma_f64 v[18:19], v[3:4], v[7:8], -v[18:19]
	v_add_f64 v[22:23], v[20:21], -v[14:15]
	v_add_f64 v[18:19], v[18:19], s[8:9]
	v_add_f64 v[24:25], v[14:15], -v[24:25]
	s_mov_b32 s8, 0xcba56427
	s_mov_b32 s9, 0xbed2866f
	v_add_f64 v[20:21], v[20:21], -v[22:23]
	v_fma_f64 v[7:8], v[3:4], v[18:19], -v[7:8]
	v_add_f64 v[12:13], v[24:25], -v[12:13]
	v_mov_b32_e32 v24, 0x6b47b09a
	v_mov_b32_e32 v25, 0x3fc38538
	v_add_f64 v[14:15], v[20:21], -v[14:15]
	v_add_f64 v[7:8], v[7:8], s[8:9]
	s_mov_b32 s8, 0xbe9a2859
	s_mov_b32 s9, 0x3ef13f58
	v_add_f64 v[12:13], v[12:13], v[14:15]
	v_fma_f64 v[14:15], v[3:4], v[7:8], -v[18:19]
	v_mov_b32_e32 v18, 0xc384c2aa
	v_mov_b32_e32 v19, 0x3d27fb0a
	v_add_f64 v[12:13], v[22:23], v[12:13]
	v_add_f64 v[14:15], v[14:15], s[8:9]
	s_mov_b32 s8, 0x59c41d5a
	s_mov_b32 s9, 0xbf0e2b26
	v_mul_f64 v[12:13], v[16:17], v[12:13]
	v_fma_f64 v[16:17], v[3:4], v[14:15], -v[7:8]
	v_fma_f64 v[7:8], v[1:2], v[1:2], -2.0
	v_add_f64 v[20:21], v[9:10], v[12:13]
	v_add_f64 v[16:17], v[16:17], s[8:9]
	s_mov_b32 s8, 0xbf559e2b
	s_mov_b32 s9, 0x3fc3ab76
	v_fma_f64 v[18:19], v[7:8], s[50:51], v[18:19]
	s_mov_b32 s51, 0xbca3cee1
	v_mul_f64 v[22:23], v[20:21], v[20:21]
	v_fma_f64 v[14:15], v[3:4], v[16:17], -v[14:15]
	v_ldexp_f64 v[28:29], v[20:21], 1
	v_add_f64 v[9:10], v[20:21], -v[9:10]
	v_fma_f64 v[30:31], v[7:8], v[18:19], s[50:51]
	s_mov_b32 s50, 0xf121b6f0
	s_mov_b32 s51, 0xbf984e9e
	v_fma_f64 v[24:25], v[22:23], s[8:9], v[24:25]
	s_mov_b32 s8, 0x74107cab
	s_mov_b32 s9, 0x3f28b51b
	v_add_f64 v[14:15], v[14:15], s[8:9]
	s_mov_b32 s8, 0xd7f4df2e
	s_mov_b32 s9, 0x3fc7474d
	v_mul_f64 v[26:27], v[20:21], v[22:23]
	v_add_f64 v[30:31], v[30:31], s[52:53]
	v_fma_f64 v[24:25], v[22:23], v[24:25], s[8:9]
	s_mov_b32 s8, 0x16291751
	s_mov_b32 s9, 0x3fcc71c0
	v_fma_f64 v[16:17], v[3:4], v[14:15], -v[16:17]
	v_add_f64 v[12:13], v[12:13], -v[9:10]
	v_fma_f64 v[18:19], v[7:8], v[30:31], -v[18:19]
	v_fma_f64 v[24:25], v[22:23], v[24:25], s[8:9]
	s_mov_b32 s8, 0x1f15eb52
	s_mov_b32 s9, 0xbf42e2fd
	v_add_f64 v[16:17], v[16:17], s[8:9]
	s_mov_b32 s8, 0x9b27acf1
	s_mov_b32 s9, 0x3fd24924
	v_ldexp_f64 v[12:13], v[12:13], 1
	v_add_f64 v[18:19], v[18:19], s[30:31]
	v_fma_f64 v[24:25], v[22:23], v[24:25], s[8:9]
	s_mov_b32 s30, 0x623fde64
	s_mov_b32 s31, 0x3ec71dee
	v_fma_f64 v[14:15], v[3:4], v[16:17], -v[14:15]
	s_mov_b32 s8, 0x81213db9
	s_mov_b32 s9, 0x3fd608d8
	v_fma_f64 v[30:31], v[7:8], v[18:19], -v[30:31]
	v_fma_f64 v[24:25], v[22:23], v[24:25], s[58:59]
	s_mov_b32 s58, 0x8a12100e
	s_mov_b32 s59, 0x3f5adc75
	v_add_f64 v[14:15], v[14:15], s[58:59]
	s_mov_b32 s58, 0x652b82fe
	s_mov_b32 s59, 0x3ff71547
	v_add_f64 v[30:31], v[30:31], s[28:29]
	v_fma_f64 v[22:23], v[22:23], v[24:25], s[0:1]
	s_mov_b32 s0, 0x201aa849
	s_mov_b32 s1, 0xbf71b65e
	v_fma_f64 v[16:17], v[3:4], v[14:15], -v[16:17]
	v_mov_b32_e32 v24, 0xfca7ab0c
	v_mov_b32_e32 v25, 0x3e928af3
	s_mov_b32 s28, 0x14761f6e
	v_fma_f64 v[18:19], v[7:8], v[30:31], -v[18:19]
	v_mul_f64 v[22:23], v[26:27], v[22:23]
	v_mul_f64 v[26:27], v[1:2], s[58:59]
	s_mov_b32 s29, 0x3f2a01a0
	v_add_f64 v[16:17], v[16:17], s[0:1]
	s_mov_b32 s0, 0xf3dde3dd
	s_mov_b32 s1, 0x3f859961
	v_add_f64 v[18:19], v[18:19], s[14:15]
	v_add_f64 v[20:21], v[28:29], v[22:23]
	v_rndne_f64_e32 v[9:10], v[26:27]
	v_fma_f64 v[26:27], v[32:33], s[60:61], -v[34:35]
	v_fma_f64 v[14:15], v[3:4], v[16:17], -v[14:15]
	s_mov_b32 s61, 0xbfe62e42
	s_mov_b32 s14, 0x77ac88c0
	;; [unrolled: 1-line block ×3, first 2 shown]
	v_add_f64 v[28:29], v[20:21], -v[28:29]
	v_fma_f64 v[1:2], v[9:10], s[60:61], v[1:2]
	v_fma_f64 v[26:27], v[32:33], s[62:63], v[26:27]
	v_add_f64 v[14:15], v[14:15], s[0:1]
	s_mov_b32 s63, 0xbc7abc9e
	s_mov_b32 s0, 0x6a5dcb37
	;; [unrolled: 1-line block ×3, first 2 shown]
	v_add_f64 v[22:23], v[22:23], -v[28:29]
	v_fma_f64 v[1:2], v[9:10], s[62:63], v[1:2]
	v_fma_f64 v[16:17], v[3:4], v[14:15], -v[16:17]
	v_add_f64 v[12:13], v[12:13], v[22:23]
	v_add_f64 v[22:23], v[34:35], v[26:27]
	v_fma_f64 v[24:25], v[1:2], s[0:1], v[24:25]
	v_add_f64 v[16:17], v[16:17], s[50:51]
	s_mov_b32 s50, 0xcea8a32d
	s_mov_b32 s51, 0x3fa93e8a
	;; [unrolled: 1-line block ×4, first 2 shown]
	v_add_f64 v[28:29], v[20:21], v[12:13]
	v_add_f64 v[34:35], v[22:23], -v[34:35]
	v_fma_f64 v[24:25], v[1:2], v[24:25], s[30:31]
	v_fma_f64 v[14:15], v[3:4], v[16:17], -v[14:15]
	s_mov_b32 s30, 0x1852b7b0
	s_mov_b32 s31, 0x3f56c16c
	v_add_f64 v[32:33], v[22:23], v[28:29]
	v_add_f64 v[20:21], v[28:29], -v[20:21]
	v_fma_f64 v[24:25], v[1:2], v[24:25], s[0:1]
	v_add_f64 v[14:15], v[14:15], s[50:51]
	s_mov_b32 s0, 0x342d06ea
	s_mov_b32 s1, 0xbfb84b70
	v_add_f64 v[26:27], v[26:27], -v[34:35]
	v_add_f64 v[36:37], v[32:33], -v[22:23]
	;; [unrolled: 1-line block ×3, first 2 shown]
	v_fma_f64 v[24:25], v[1:2], v[24:25], s[28:29]
	v_fma_f64 v[16:17], v[3:4], v[14:15], -v[16:17]
	v_add_f64 v[38:39], v[32:33], -v[36:37]
	v_add_f64 v[20:21], v[28:29], -v[36:37]
	v_fma_f64 v[28:29], v[7:8], v[18:19], -v[30:31]
	v_add_f64 v[16:17], v[16:17], s[0:1]
	v_fma_f64 v[24:25], v[1:2], v[24:25], s[30:31]
	s_mov_b32 s0, 0x11122322
	s_mov_b32 s1, 0x3f811111
	v_add_f64 v[30:31], v[26:27], v[12:13]
	v_add_f64 v[22:23], v[22:23], -v[38:39]
	v_fma_f64 v[14:15], v[3:4], v[16:17], -v[14:15]
	v_fma_f64 v[24:25], v[1:2], v[24:25], s[0:1]
	s_mov_b32 s0, 0x555502a1
	s_mov_b32 s1, 0x3fa55555
	v_add_f64 v[20:21], v[20:21], v[22:23]
	v_add_f64 v[22:23], v[28:29], s[12:13]
	s_mov_b32 s12, 0x55555511
	v_add_f64 v[14:15], v[14:15], s[14:15]
	v_fma_f64 v[24:25], v[1:2], v[24:25], s[0:1]
	v_add_f64 v[28:29], v[30:31], -v[26:27]
	s_mov_b32 s0, 0xc057cd8d
	s_mov_b32 s13, 0x3fc55555
	v_add_f64 v[20:21], v[30:31], v[20:21]
	v_fma_f64 v[18:19], v[7:8], v[22:23], -v[18:19]
	s_mov_b32 s1, 0xbfd37feb
	v_fma_f64 v[16:17], v[3:4], v[14:15], -v[16:17]
	v_fma_f64 v[24:25], v[1:2], v[24:25], s[12:13]
	v_add_f64 v[30:31], v[30:31], -v[28:29]
	v_add_f64 v[12:13], v[12:13], -v[28:29]
	v_add_f64 v[34:35], v[32:33], v[20:21]
	v_add_f64 v[18:19], v[18:19], s[10:11]
	;; [unrolled: 1-line block ×3, first 2 shown]
	s_mov_b32 s0, 11
	s_mov_b32 s1, 0x3fe00000
	v_fma_f64 v[24:25], v[1:2], v[24:25], s[0:1]
	v_add_f64 v[26:27], v[26:27], -v[30:31]
	v_add_f64 v[28:29], v[34:35], -v[32:33]
	v_fma_f64 v[22:23], v[7:8], v[18:19], -v[22:23]
	s_mov_b32 s0, 0x9035a22a
	v_fma_f64 v[3:4], v[3:4], v[16:17], -v[14:15]
	s_mov_b32 s1, 0x3fe5a84e
	v_add_f64 v[12:13], v[12:13], v[26:27]
	v_add_f64 v[16:17], v[20:21], -v[28:29]
	v_add_f64 v[20:21], v[22:23], s[8:9]
	v_fma_f64 v[22:23], v[1:2], v[24:25], 1.0
	v_add_f64 v[3:4], v[3:4], s[0:1]
	s_mov_b32 s0, 0xe9d2f61f
	s_mov_b32 s1, 0xbfe12166
	v_add_f64 v[12:13], v[12:13], v[16:17]
	v_fma_f64 v[7:8], v[7:8], v[20:21], -v[18:19]
	v_fma_f64 v[1:2], v[1:2], v[22:23], 1.0
	v_add_f64 v[3:4], v[3:4], -v[14:15]
	v_cvt_i32_f64_e32 v14, v[9:10]
	v_add_f64 v[9:10], v[34:35], v[12:13]
	v_add_f64 v[7:8], v[7:8], s[0:1]
	v_ldexp_f64 v[1:2], v[1:2], v14
	v_mul_f64 v[3:4], v[3:4], 0.5
	s_mov_b32 s0, 0
	s_mov_b32 s1, 0x7ff00000
	v_cmp_neq_f64_e32 vcc, s[0:1], v[5:6]
	v_cmp_neq_f64_e64 s[0:1], 0, v[5:6]
	v_mov_b32_e32 v12, 0x7ff00000
	v_add_f64 v[5:6], v[7:8], -v[18:19]
	v_mul_f64 v[3:4], v[1:2], v[3:4]
	v_cndmask_b32_e32 v10, v12, v10, vcc
	v_mov_b32_e32 v12, 0xfff00000
	s_and_b64 vcc, s[0:1], vcc
	v_cndmask_b32_e64 v8, v12, v10, s[0:1]
	v_cndmask_b32_e32 v7, 0, v9, vcc
	v_mul_f64 v[3:4], v[7:8], v[3:4]
	v_fma_f64 v[3:4], v[5:6], 0.5, -v[3:4]
	v_mul_f64 v[3:4], v[1:2], v[3:4]
                                        ; implicit-def: $vgpr1_vgpr2
.LBB7_142:
	s_andn2_saveexec_b64 s[0:1], s[6:7]
	s_cbranch_execz .LBB7_144
; %bb.143:
	s_mov_b32 s6, 0
	s_mov_b32 s7, 0x40200000
	v_div_scale_f64 v[3:4], s[8:9], v[1:2], v[1:2], s[6:7]
	v_rcp_f64_e32 v[5:6], v[3:4]
	v_fma_f64 v[7:8], -v[3:4], v[5:6], 1.0
	v_fma_f64 v[5:6], v[5:6], v[7:8], v[5:6]
	v_div_scale_f64 v[7:8], vcc, s[6:7], v[1:2], s[6:7]
	v_fma_f64 v[9:10], -v[3:4], v[5:6], 1.0
	v_fma_f64 v[5:6], v[5:6], v[9:10], v[5:6]
	v_mul_f64 v[9:10], v[7:8], v[5:6]
	v_fma_f64 v[3:4], -v[3:4], v[9:10], v[7:8]
	v_div_fmas_f64 v[3:4], v[3:4], v[5:6], v[9:10]
	v_mov_b32_e32 v5, 0x93812603
	v_mov_b32_e32 v6, 0xbc72fecc
	;; [unrolled: 1-line block ×3, first 2 shown]
	v_div_fixup_f64 v[3:4], v[3:4], v[1:2], s[6:7]
	s_mov_b32 s7, 0x3c5871a5
	s_mov_b32 s6, 0xcf8c9ee1
	v_add_f64 v[3:4], v[3:4], -2.0
	v_fma_f64 v[5:6], v[3:4], s[6:7], v[5:6]
	s_mov_b32 s7, 0xbc5871a5
	v_fma_f64 v[7:8], v[3:4], v[5:6], s[6:7]
	s_mov_b32 s6, 0x41a8cdf4
	s_mov_b32 s7, 0x3c8e092e
	v_add_f64 v[7:8], v[7:8], s[6:7]
	s_mov_b32 s6, 0x74d77641
	s_mov_b32 s7, 0xbca82f94
	v_fma_f64 v[5:6], v[3:4], v[7:8], -v[5:6]
	v_add_f64 v[5:6], v[5:6], s[6:7]
	s_mov_b32 s6, 0x6b94785b
	s_mov_b32 s7, 0x3cc3dbf9
	v_fma_f64 v[7:8], v[3:4], v[5:6], -v[7:8]
	;; [unrolled: 4-line block ×17, first 2 shown]
	v_add_f64 v[5:6], v[5:6], s[6:7]
	s_mov_b32 s6, 0
	s_brev_b32 s7, 8
	v_cmp_gt_f64_e32 vcc, s[6:7], v[1:2]
	s_mov_b32 s6, 0xcc7470a9
	s_mov_b32 s7, 0x3eed413f
	v_fma_f64 v[7:8], v[3:4], v[5:6], -v[7:8]
	v_cndmask_b32_e32 v9, 0, v9, vcc
	v_ldexp_f64 v[1:2], v[1:2], v9
	v_add_f64 v[7:8], v[7:8], s[6:7]
	s_mov_b32 s6, 0xe7889f42
	s_mov_b32 s7, 0xbf20d797
	v_rsq_f64_e32 v[9:10], v[1:2]
	v_fma_f64 v[5:6], v[3:4], v[7:8], -v[5:6]
	v_add_f64 v[5:6], v[5:6], s[6:7]
	s_mov_b32 s6, 0xfca79342
	s_mov_b32 s7, 0x3f59b891
	v_mul_f64 v[12:13], v[1:2], v[9:10]
	v_mul_f64 v[9:10], v[9:10], 0.5
	v_fma_f64 v[7:8], v[3:4], v[5:6], -v[7:8]
	v_fma_f64 v[14:15], -v[9:10], v[12:13], 0.5
	v_add_f64 v[7:8], v[7:8], s[6:7]
	s_mov_b32 s6, 0x2d4ff71e
	s_mov_b32 s7, 0xbfa019f7
	v_fma_f64 v[12:13], v[12:13], v[14:15], v[12:13]
	v_fma_f64 v[9:10], v[9:10], v[14:15], v[9:10]
	v_fma_f64 v[5:6], v[3:4], v[7:8], -v[5:6]
	v_fma_f64 v[14:15], -v[12:13], v[12:13], v[1:2]
	v_add_f64 v[5:6], v[5:6], s[6:7]
	s_mov_b32 s6, 0x9f4e6907
	s_mov_b32 s7, 0x400385bd
	v_fma_f64 v[12:13], v[14:15], v[9:10], v[12:13]
	v_fma_f64 v[3:4], v[3:4], v[5:6], -v[7:8]
	v_fma_f64 v[5:6], -v[12:13], v[12:13], v[1:2]
	v_add_f64 v[3:4], v[3:4], s[6:7]
	v_fma_f64 v[5:6], v[5:6], v[9:10], v[12:13]
	v_add_f64 v[3:4], v[3:4], -v[7:8]
	v_mov_b32_e32 v7, 0xffffff80
	v_mov_b32_e32 v8, 0x260
	v_cndmask_b32_e32 v7, 0, v7, vcc
	v_cmp_class_f64_e32 vcc, v[1:2], v8
	v_ldexp_f64 v[5:6], v[5:6], v7
	v_mul_f64 v[3:4], v[3:4], 0.5
	v_cndmask_b32_e32 v2, v6, v2, vcc
	v_cndmask_b32_e32 v1, v5, v1, vcc
	v_div_scale_f64 v[5:6], s[6:7], v[1:2], v[1:2], v[3:4]
	v_div_scale_f64 v[12:13], vcc, v[3:4], v[1:2], v[3:4]
	v_rcp_f64_e32 v[7:8], v[5:6]
	v_fma_f64 v[9:10], -v[5:6], v[7:8], 1.0
	v_fma_f64 v[7:8], v[7:8], v[9:10], v[7:8]
	v_fma_f64 v[9:10], -v[5:6], v[7:8], 1.0
	v_fma_f64 v[7:8], v[7:8], v[9:10], v[7:8]
	v_mul_f64 v[9:10], v[12:13], v[7:8]
	v_fma_f64 v[5:6], -v[5:6], v[9:10], v[12:13]
	v_div_fmas_f64 v[5:6], v[5:6], v[7:8], v[9:10]
	v_div_fixup_f64 v[3:4], v[5:6], v[1:2], v[3:4]
.LBB7_144:
	s_or_b64 exec, exec, s[0:1]
.LBB7_145:
	s_or_b64 exec, exec, s[4:5]
.LBB7_146:
	s_or_b64 exec, exec, s[2:3]
	v_add_u32_e32 v11, 0x80, v11
	global_store_dwordx2 v0, v[3:4], s[16:17]
	s_or_b64 exec, exec, s[48:49]
	v_cmp_gt_i32_e32 vcc, s55, v11
	s_and_saveexec_b64 s[48:49], vcc
	s_cbranch_execnz .LBB7_124
.LBB7_147:
	s_or_b64 exec, exec, s[48:49]
	v_cmp_gt_i32_e32 vcc, s55, v11
	s_and_saveexec_b64 s[48:49], vcc
	s_cbranch_execnz .LBB7_166
.LBB7_148:
	s_or_b64 exec, exec, s[48:49]
                                        ; implicit-def: $vgpr9
                                        ; implicit-def: $vgpr11
	s_andn2_saveexec_b64 s[0:1], s[38:39]
	s_cbranch_execnz .LBB7_8
.LBB7_149:
	s_endpgm
.LBB7_150:
	s_mov_b32 s57, 0
	v_mov_b32_e32 v0, 0
	v_mov_b32_e32 v2, 0
	;; [unrolled: 1-line block ×3, first 2 shown]
.LBB7_151:
	s_and_b32 s4, s58, 3
	s_cmp_eq_u32 s4, 0
	s_cbranch_scc1 .LBB7_154
; %bb.152:
	s_lshl_b32 s0, s57, 3
	s_add_u32 s0, s34, s0
	s_addc_u32 s1, s35, 0
	s_add_u32 s0, s0, 0xc4
	s_addc_u32 s1, s1, 0
	s_mul_i32 s2, s57, 12
	s_add_u32 s2, s34, s2
	s_addc_u32 s3, s35, 0
.LBB7_153:                              ; =>This Inner Loop Header: Depth=1
	s_load_dwordx2 s[6:7], s[2:3], 0x4
	s_load_dword s5, s[2:3], 0xc
	s_load_dwordx2 s[8:9], s[0:1], 0x0
	s_add_u32 s2, s2, 12
	s_addc_u32 s3, s3, 0
	s_waitcnt lgkmcnt(0)
	v_mul_hi_u32 v3, s7, v1
	s_add_u32 s0, s0, 8
	s_addc_u32 s1, s1, 0
	s_add_i32 s4, s4, -1
	v_add_u32_e32 v3, v1, v3
	v_lshrrev_b32_e32 v4, s5, v3
	v_mul_lo_u32 v3, v4, s6
	s_cmp_lg_u32 s4, 0
	v_sub_u32_e32 v3, v1, v3
	v_mad_u64_u32 v[0:1], s[6:7], v3, s8, v[0:1]
	v_mad_u64_u32 v[2:3], s[6:7], v3, s9, v[2:3]
	v_mov_b32_e32 v1, v4
	s_cbranch_scc1 .LBB7_153
.LBB7_154:
	s_cbranch_execnz .LBB7_157
.LBB7_155:
	s_waitcnt lgkmcnt(0)
	v_mul_hi_u32 v0, s25, v11
	s_andn2_b64 vcc, exec, s[42:43]
	v_add_u32_e32 v0, v11, v0
	v_lshrrev_b32_e32 v1, s26, v0
	v_mul_lo_u32 v0, v1, s24
	v_sub_u32_e32 v2, v11, v0
	v_mul_lo_u32 v0, v2, s20
	v_mul_lo_u32 v2, v2, s21
	s_cbranch_vccnz .LBB7_157
; %bb.156:
	v_mul_hi_u32 v3, s40, v1
	v_add_u32_e32 v3, v1, v3
	v_lshrrev_b32_e32 v3, s41, v3
	v_mul_lo_u32 v3, v3, s27
	v_sub_u32_e32 v3, v1, v3
	v_mad_u64_u32 v[0:1], s[0:1], v3, s22, v[0:1]
	v_mad_u64_u32 v[2:3], s[0:1], v3, s23, v[2:3]
.LBB7_157:
	s_waitcnt lgkmcnt(0)
	global_load_dwordx2 v[1:2], v2, s[18:19]
	v_mov_b32_e32 v3, 0
	v_mov_b32_e32 v4, 0x7ff00000
	s_waitcnt vmcnt(0)
	v_cmp_neq_f64_e32 vcc, 0, v[1:2]
	s_and_saveexec_b64 s[2:3], vcc
	s_cbranch_execz .LBB7_165
; %bb.158:
	v_cmp_ngt_f64_e32 vcc, 0, v[1:2]
	v_mov_b32_e32 v3, 0
	v_mov_b32_e32 v4, 0x7ff80000
	s_and_saveexec_b64 s[4:5], vcc
	s_cbranch_execz .LBB7_164
; %bb.159:
	v_cmp_ge_f64_e32 vcc, 2.0, v[1:2]
                                        ; implicit-def: $vgpr3_vgpr4
	s_and_saveexec_b64 s[0:1], vcc
	s_xor_b64 s[6:7], exec, s[0:1]
	s_cbranch_execz .LBB7_161
; %bb.160:
	v_fma_f64 v[3:4], v[1:2], 0.5, -2.0
	v_mov_b32_e32 v5, 0x977da589
	v_mov_b32_e32 v6, 0x3c833362
	s_mov_b32 s1, 0xbc545cb7
	s_mov_b32 s0, 0x2134d0ef
	;; [unrolled: 1-line block ×5, first 2 shown]
	v_fma_f64 v[5:6], v[3:4], s[0:1], v[5:6]
	s_mov_b32 s1, 0x3c545cb7
	s_mov_b32 s59, 0x3fd99999
	;; [unrolled: 1-line block ×7, first 2 shown]
	v_fma_f64 v[7:8], v[3:4], v[5:6], s[0:1]
	s_mov_b32 s0, 0x721ebbb4
	s_mov_b32 s1, 0xbcb184eb
	;; [unrolled: 1-line block ×7, first 2 shown]
	v_add_f64 v[7:8], v[7:8], s[0:1]
	s_mov_b32 s0, 0x93f65eba
	s_mov_b32 s1, 0x3cdee6d8
	;; [unrolled: 1-line block ×7, first 2 shown]
	v_fma_f64 v[5:6], v[3:4], v[7:8], -v[5:6]
	s_mov_b32 s13, 0x3f54b82e
	s_mov_b32 s10, 0x554a9085
	;; [unrolled: 1-line block ×3, first 2 shown]
	v_add_f64 v[5:6], v[5:6], s[0:1]
	s_mov_b32 s0, 0xc297fbeb
	s_mov_b32 s1, 0xbd0a5022
	v_fma_f64 v[7:8], v[3:4], v[5:6], -v[7:8]
	v_add_f64 v[7:8], v[7:8], s[0:1]
	s_mov_b32 s0, 0x4b262627
	s_mov_b32 s1, 0x3d359b46
	v_fma_f64 v[5:6], v[3:4], v[7:8], -v[5:6]
	;; [unrolled: 4-line block ×4, first 2 shown]
	v_add_f64 v[9:10], v[5:6], s[0:1]
	v_mul_f64 v[5:6], v[1:2], 0.5
	s_mov_b32 s1, 0x3fe55555
	s_mov_b32 s0, 0x55555555
	v_fma_f64 v[7:8], v[3:4], v[9:10], -v[7:8]
	v_frexp_mant_f64_e32 v[12:13], v[5:6]
	v_frexp_exp_i32_f64_e32 v32, v[5:6]
	v_add_f64 v[7:8], v[7:8], s[8:9]
	v_cmp_gt_f64_e32 vcc, s[0:1], v[12:13]
	s_mov_b32 s8, 0xcc743c10
	s_mov_b32 s9, 0x3dda98be
	;; [unrolled: 1-line block ×3, first 2 shown]
	v_fma_f64 v[9:10], v[3:4], v[7:8], -v[9:10]
	v_cndmask_b32_e64 v14, 0, 1, vcc
	v_ldexp_f64 v[12:13], v[12:13], v14
	v_subbrev_co_u32_e32 v32, vcc, 0, v32, vcc
	v_cvt_f64_i32_e32 v[32:33], v32
	v_add_f64 v[9:10], v[9:10], s[8:9]
	s_mov_b32 s8, 0x13ae9556
	v_add_f64 v[14:15], v[12:13], 1.0
	s_mov_b32 s9, 0xbe01d4fe
	v_add_f64 v[20:21], v[12:13], -1.0
	v_mul_f64 v[34:35], v[32:33], s[60:61]
	v_fma_f64 v[7:8], v[3:4], v[9:10], -v[7:8]
	v_rcp_f64_e32 v[16:17], v[14:15]
	v_add_f64 v[22:23], v[14:15], -1.0
	v_add_f64 v[7:8], v[7:8], s[8:9]
	s_mov_b32 s8, 0xa454cb34
	s_mov_b32 s9, 0x3e26d903
	v_add_f64 v[12:13], v[12:13], -v[22:23]
	v_fma_f64 v[9:10], v[3:4], v[7:8], -v[9:10]
	v_fma_f64 v[18:19], -v[14:15], v[16:17], 1.0
	v_fma_f64 v[16:17], v[18:19], v[16:17], v[16:17]
	v_add_f64 v[18:19], v[9:10], s[8:9]
	s_mov_b32 s8, 0x8c0b30ab
	s_mov_b32 s9, 0xbe4beaf6
	v_fma_f64 v[9:10], -v[14:15], v[16:17], 1.0
	v_fma_f64 v[7:8], v[3:4], v[18:19], -v[7:8]
	v_fma_f64 v[16:17], v[9:10], v[16:17], v[16:17]
	v_add_f64 v[7:8], v[7:8], s[8:9]
	s_mov_b32 s8, 0x9d4d6435
	s_mov_b32 s9, 0x3e703b76
	v_mul_f64 v[9:10], v[20:21], v[16:17]
	v_fma_f64 v[18:19], v[3:4], v[7:8], -v[18:19]
	v_mul_f64 v[24:25], v[14:15], v[9:10]
	v_add_f64 v[18:19], v[18:19], s[8:9]
	s_mov_b32 s8, 0x8f227f8d
	s_mov_b32 s9, 0xbe91ec63
	v_fma_f64 v[14:15], v[9:10], v[14:15], -v[24:25]
	v_fma_f64 v[7:8], v[3:4], v[18:19], -v[7:8]
	v_fma_f64 v[12:13], v[9:10], v[12:13], v[14:15]
	v_add_f64 v[7:8], v[7:8], s[8:9]
	s_mov_b32 s8, 0x978cf4ac
	s_mov_b32 s9, 0x3eb2bf24
	v_add_f64 v[14:15], v[24:25], v[12:13]
	v_fma_f64 v[18:19], v[3:4], v[7:8], -v[18:19]
	v_add_f64 v[22:23], v[20:21], -v[14:15]
	v_add_f64 v[18:19], v[18:19], s[8:9]
	v_add_f64 v[24:25], v[14:15], -v[24:25]
	s_mov_b32 s8, 0xcba56427
	s_mov_b32 s9, 0xbed2866f
	v_add_f64 v[20:21], v[20:21], -v[22:23]
	v_fma_f64 v[7:8], v[3:4], v[18:19], -v[7:8]
	v_add_f64 v[12:13], v[24:25], -v[12:13]
	v_mov_b32_e32 v24, 0x6b47b09a
	v_mov_b32_e32 v25, 0x3fc38538
	v_add_f64 v[14:15], v[20:21], -v[14:15]
	v_add_f64 v[7:8], v[7:8], s[8:9]
	s_mov_b32 s8, 0xbe9a2859
	s_mov_b32 s9, 0x3ef13f58
	v_add_f64 v[12:13], v[12:13], v[14:15]
	v_fma_f64 v[14:15], v[3:4], v[7:8], -v[18:19]
	v_mov_b32_e32 v18, 0xc384c2aa
	v_mov_b32_e32 v19, 0x3d27fb0a
	v_add_f64 v[12:13], v[22:23], v[12:13]
	v_add_f64 v[14:15], v[14:15], s[8:9]
	s_mov_b32 s8, 0x59c41d5a
	s_mov_b32 s9, 0xbf0e2b26
	v_mul_f64 v[12:13], v[16:17], v[12:13]
	v_fma_f64 v[16:17], v[3:4], v[14:15], -v[7:8]
	v_fma_f64 v[7:8], v[1:2], v[1:2], -2.0
	v_add_f64 v[20:21], v[9:10], v[12:13]
	v_add_f64 v[16:17], v[16:17], s[8:9]
	s_mov_b32 s8, 0xbf559e2b
	s_mov_b32 s9, 0x3fc3ab76
	v_fma_f64 v[18:19], v[7:8], s[50:51], v[18:19]
	s_mov_b32 s51, 0xbca3cee1
	v_mul_f64 v[22:23], v[20:21], v[20:21]
	v_fma_f64 v[14:15], v[3:4], v[16:17], -v[14:15]
	v_ldexp_f64 v[28:29], v[20:21], 1
	v_add_f64 v[9:10], v[20:21], -v[9:10]
	v_fma_f64 v[30:31], v[7:8], v[18:19], s[50:51]
	s_mov_b32 s50, 0xf121b6f0
	s_mov_b32 s51, 0xbf984e9e
	v_fma_f64 v[24:25], v[22:23], s[8:9], v[24:25]
	s_mov_b32 s8, 0x74107cab
	s_mov_b32 s9, 0x3f28b51b
	v_add_f64 v[14:15], v[14:15], s[8:9]
	s_mov_b32 s8, 0xd7f4df2e
	s_mov_b32 s9, 0x3fc7474d
	v_mul_f64 v[26:27], v[20:21], v[22:23]
	v_add_f64 v[30:31], v[30:31], s[52:53]
	v_fma_f64 v[24:25], v[22:23], v[24:25], s[8:9]
	s_mov_b32 s8, 0x16291751
	s_mov_b32 s9, 0x3fcc71c0
	v_fma_f64 v[16:17], v[3:4], v[14:15], -v[16:17]
	v_add_f64 v[12:13], v[12:13], -v[9:10]
	v_fma_f64 v[18:19], v[7:8], v[30:31], -v[18:19]
	v_fma_f64 v[24:25], v[22:23], v[24:25], s[8:9]
	s_mov_b32 s8, 0x1f15eb52
	s_mov_b32 s9, 0xbf42e2fd
	v_add_f64 v[16:17], v[16:17], s[8:9]
	s_mov_b32 s8, 0x9b27acf1
	s_mov_b32 s9, 0x3fd24924
	v_ldexp_f64 v[12:13], v[12:13], 1
	v_add_f64 v[18:19], v[18:19], s[30:31]
	v_fma_f64 v[24:25], v[22:23], v[24:25], s[8:9]
	s_mov_b32 s30, 0x623fde64
	s_mov_b32 s31, 0x3ec71dee
	v_fma_f64 v[14:15], v[3:4], v[16:17], -v[14:15]
	s_mov_b32 s8, 0x81213db9
	s_mov_b32 s9, 0x3fd608d8
	v_fma_f64 v[30:31], v[7:8], v[18:19], -v[30:31]
	v_fma_f64 v[24:25], v[22:23], v[24:25], s[58:59]
	s_mov_b32 s58, 0x8a12100e
	s_mov_b32 s59, 0x3f5adc75
	v_add_f64 v[14:15], v[14:15], s[58:59]
	s_mov_b32 s58, 0x652b82fe
	s_mov_b32 s59, 0x3ff71547
	v_add_f64 v[30:31], v[30:31], s[28:29]
	v_fma_f64 v[22:23], v[22:23], v[24:25], s[0:1]
	s_mov_b32 s0, 0x201aa849
	s_mov_b32 s1, 0xbf71b65e
	v_fma_f64 v[16:17], v[3:4], v[14:15], -v[16:17]
	v_mov_b32_e32 v24, 0xfca7ab0c
	v_mov_b32_e32 v25, 0x3e928af3
	s_mov_b32 s28, 0x14761f6e
	v_fma_f64 v[18:19], v[7:8], v[30:31], -v[18:19]
	v_mul_f64 v[22:23], v[26:27], v[22:23]
	v_mul_f64 v[26:27], v[1:2], s[58:59]
	s_mov_b32 s29, 0x3f2a01a0
	v_add_f64 v[16:17], v[16:17], s[0:1]
	s_mov_b32 s0, 0xf3dde3dd
	s_mov_b32 s1, 0x3f859961
	v_add_f64 v[18:19], v[18:19], s[14:15]
	v_add_f64 v[20:21], v[28:29], v[22:23]
	v_rndne_f64_e32 v[9:10], v[26:27]
	v_fma_f64 v[26:27], v[32:33], s[60:61], -v[34:35]
	v_fma_f64 v[14:15], v[3:4], v[16:17], -v[14:15]
	s_mov_b32 s61, 0xbfe62e42
	s_mov_b32 s14, 0x77ac88c0
	;; [unrolled: 1-line block ×3, first 2 shown]
	v_add_f64 v[28:29], v[20:21], -v[28:29]
	v_fma_f64 v[1:2], v[9:10], s[60:61], v[1:2]
	v_fma_f64 v[26:27], v[32:33], s[62:63], v[26:27]
	v_add_f64 v[14:15], v[14:15], s[0:1]
	s_mov_b32 s63, 0xbc7abc9e
	s_mov_b32 s0, 0x6a5dcb37
	;; [unrolled: 1-line block ×3, first 2 shown]
	v_add_f64 v[22:23], v[22:23], -v[28:29]
	v_fma_f64 v[1:2], v[9:10], s[62:63], v[1:2]
	v_fma_f64 v[16:17], v[3:4], v[14:15], -v[16:17]
	v_add_f64 v[12:13], v[12:13], v[22:23]
	v_add_f64 v[22:23], v[34:35], v[26:27]
	v_fma_f64 v[24:25], v[1:2], s[0:1], v[24:25]
	v_add_f64 v[16:17], v[16:17], s[50:51]
	s_mov_b32 s50, 0xcea8a32d
	s_mov_b32 s51, 0x3fa93e8a
	;; [unrolled: 1-line block ×4, first 2 shown]
	v_add_f64 v[28:29], v[20:21], v[12:13]
	v_add_f64 v[34:35], v[22:23], -v[34:35]
	v_fma_f64 v[24:25], v[1:2], v[24:25], s[30:31]
	v_fma_f64 v[14:15], v[3:4], v[16:17], -v[14:15]
	s_mov_b32 s30, 0x1852b7b0
	s_mov_b32 s31, 0x3f56c16c
	v_add_f64 v[32:33], v[22:23], v[28:29]
	v_add_f64 v[20:21], v[28:29], -v[20:21]
	v_fma_f64 v[24:25], v[1:2], v[24:25], s[0:1]
	v_add_f64 v[14:15], v[14:15], s[50:51]
	s_mov_b32 s0, 0x342d06ea
	s_mov_b32 s1, 0xbfb84b70
	v_add_f64 v[26:27], v[26:27], -v[34:35]
	v_add_f64 v[36:37], v[32:33], -v[22:23]
	;; [unrolled: 1-line block ×3, first 2 shown]
	v_fma_f64 v[24:25], v[1:2], v[24:25], s[28:29]
	v_fma_f64 v[16:17], v[3:4], v[14:15], -v[16:17]
	v_add_f64 v[38:39], v[32:33], -v[36:37]
	v_add_f64 v[20:21], v[28:29], -v[36:37]
	v_fma_f64 v[28:29], v[7:8], v[18:19], -v[30:31]
	v_add_f64 v[16:17], v[16:17], s[0:1]
	v_fma_f64 v[24:25], v[1:2], v[24:25], s[30:31]
	s_mov_b32 s0, 0x11122322
	s_mov_b32 s1, 0x3f811111
	v_add_f64 v[30:31], v[26:27], v[12:13]
	v_add_f64 v[22:23], v[22:23], -v[38:39]
	v_fma_f64 v[14:15], v[3:4], v[16:17], -v[14:15]
	v_fma_f64 v[24:25], v[1:2], v[24:25], s[0:1]
	s_mov_b32 s0, 0x555502a1
	s_mov_b32 s1, 0x3fa55555
	v_add_f64 v[20:21], v[20:21], v[22:23]
	v_add_f64 v[22:23], v[28:29], s[12:13]
	s_mov_b32 s12, 0x55555511
	v_add_f64 v[14:15], v[14:15], s[14:15]
	v_fma_f64 v[24:25], v[1:2], v[24:25], s[0:1]
	v_add_f64 v[28:29], v[30:31], -v[26:27]
	s_mov_b32 s0, 0xc057cd8d
	s_mov_b32 s13, 0x3fc55555
	v_add_f64 v[20:21], v[30:31], v[20:21]
	v_fma_f64 v[18:19], v[7:8], v[22:23], -v[18:19]
	s_mov_b32 s1, 0xbfd37feb
	v_fma_f64 v[16:17], v[3:4], v[14:15], -v[16:17]
	v_fma_f64 v[24:25], v[1:2], v[24:25], s[12:13]
	v_add_f64 v[30:31], v[30:31], -v[28:29]
	v_add_f64 v[12:13], v[12:13], -v[28:29]
	v_add_f64 v[34:35], v[32:33], v[20:21]
	v_add_f64 v[18:19], v[18:19], s[10:11]
	;; [unrolled: 1-line block ×3, first 2 shown]
	s_mov_b32 s0, 11
	s_mov_b32 s1, 0x3fe00000
	v_fma_f64 v[24:25], v[1:2], v[24:25], s[0:1]
	v_add_f64 v[26:27], v[26:27], -v[30:31]
	v_add_f64 v[28:29], v[34:35], -v[32:33]
	v_fma_f64 v[22:23], v[7:8], v[18:19], -v[22:23]
	s_mov_b32 s0, 0x9035a22a
	v_fma_f64 v[3:4], v[3:4], v[16:17], -v[14:15]
	s_mov_b32 s1, 0x3fe5a84e
	v_add_f64 v[12:13], v[12:13], v[26:27]
	v_add_f64 v[16:17], v[20:21], -v[28:29]
	v_add_f64 v[20:21], v[22:23], s[8:9]
	v_fma_f64 v[22:23], v[1:2], v[24:25], 1.0
	v_add_f64 v[3:4], v[3:4], s[0:1]
	s_mov_b32 s0, 0xe9d2f61f
	s_mov_b32 s1, 0xbfe12166
	v_add_f64 v[12:13], v[12:13], v[16:17]
	v_fma_f64 v[7:8], v[7:8], v[20:21], -v[18:19]
	v_fma_f64 v[1:2], v[1:2], v[22:23], 1.0
	v_add_f64 v[3:4], v[3:4], -v[14:15]
	v_cvt_i32_f64_e32 v14, v[9:10]
	v_add_f64 v[9:10], v[34:35], v[12:13]
	v_add_f64 v[7:8], v[7:8], s[0:1]
	v_ldexp_f64 v[1:2], v[1:2], v14
	v_mul_f64 v[3:4], v[3:4], 0.5
	s_mov_b32 s0, 0
	s_mov_b32 s1, 0x7ff00000
	v_cmp_neq_f64_e32 vcc, s[0:1], v[5:6]
	v_cmp_neq_f64_e64 s[0:1], 0, v[5:6]
	v_mov_b32_e32 v12, 0x7ff00000
	v_add_f64 v[5:6], v[7:8], -v[18:19]
	v_mul_f64 v[3:4], v[1:2], v[3:4]
	v_cndmask_b32_e32 v10, v12, v10, vcc
	v_mov_b32_e32 v12, 0xfff00000
	s_and_b64 vcc, s[0:1], vcc
	v_cndmask_b32_e64 v8, v12, v10, s[0:1]
	v_cndmask_b32_e32 v7, 0, v9, vcc
	v_mul_f64 v[3:4], v[7:8], v[3:4]
	v_fma_f64 v[3:4], v[5:6], 0.5, -v[3:4]
	v_mul_f64 v[3:4], v[1:2], v[3:4]
                                        ; implicit-def: $vgpr1_vgpr2
.LBB7_161:
	s_andn2_saveexec_b64 s[0:1], s[6:7]
	s_cbranch_execz .LBB7_163
; %bb.162:
	s_mov_b32 s6, 0
	s_mov_b32 s7, 0x40200000
	v_div_scale_f64 v[3:4], s[8:9], v[1:2], v[1:2], s[6:7]
	v_rcp_f64_e32 v[5:6], v[3:4]
	v_fma_f64 v[7:8], -v[3:4], v[5:6], 1.0
	v_fma_f64 v[5:6], v[5:6], v[7:8], v[5:6]
	v_div_scale_f64 v[7:8], vcc, s[6:7], v[1:2], s[6:7]
	v_fma_f64 v[9:10], -v[3:4], v[5:6], 1.0
	v_fma_f64 v[5:6], v[5:6], v[9:10], v[5:6]
	v_mul_f64 v[9:10], v[7:8], v[5:6]
	v_fma_f64 v[3:4], -v[3:4], v[9:10], v[7:8]
	v_div_fmas_f64 v[3:4], v[3:4], v[5:6], v[9:10]
	v_mov_b32_e32 v5, 0x93812603
	v_mov_b32_e32 v6, 0xbc72fecc
	;; [unrolled: 1-line block ×3, first 2 shown]
	v_div_fixup_f64 v[3:4], v[3:4], v[1:2], s[6:7]
	s_mov_b32 s7, 0x3c5871a5
	s_mov_b32 s6, 0xcf8c9ee1
	v_add_f64 v[3:4], v[3:4], -2.0
	v_fma_f64 v[5:6], v[3:4], s[6:7], v[5:6]
	s_mov_b32 s7, 0xbc5871a5
	v_fma_f64 v[7:8], v[3:4], v[5:6], s[6:7]
	s_mov_b32 s6, 0x41a8cdf4
	s_mov_b32 s7, 0x3c8e092e
	v_add_f64 v[7:8], v[7:8], s[6:7]
	s_mov_b32 s6, 0x74d77641
	s_mov_b32 s7, 0xbca82f94
	v_fma_f64 v[5:6], v[3:4], v[7:8], -v[5:6]
	v_add_f64 v[5:6], v[5:6], s[6:7]
	s_mov_b32 s6, 0x6b94785b
	s_mov_b32 s7, 0x3cc3dbf9
	v_fma_f64 v[7:8], v[3:4], v[5:6], -v[7:8]
	;; [unrolled: 4-line block ×17, first 2 shown]
	v_add_f64 v[5:6], v[5:6], s[6:7]
	s_mov_b32 s6, 0
	s_brev_b32 s7, 8
	v_cmp_gt_f64_e32 vcc, s[6:7], v[1:2]
	s_mov_b32 s6, 0xcc7470a9
	s_mov_b32 s7, 0x3eed413f
	v_fma_f64 v[7:8], v[3:4], v[5:6], -v[7:8]
	v_cndmask_b32_e32 v9, 0, v9, vcc
	v_ldexp_f64 v[1:2], v[1:2], v9
	v_add_f64 v[7:8], v[7:8], s[6:7]
	s_mov_b32 s6, 0xe7889f42
	s_mov_b32 s7, 0xbf20d797
	v_rsq_f64_e32 v[9:10], v[1:2]
	v_fma_f64 v[5:6], v[3:4], v[7:8], -v[5:6]
	v_add_f64 v[5:6], v[5:6], s[6:7]
	s_mov_b32 s6, 0xfca79342
	s_mov_b32 s7, 0x3f59b891
	v_mul_f64 v[12:13], v[1:2], v[9:10]
	v_mul_f64 v[9:10], v[9:10], 0.5
	v_fma_f64 v[7:8], v[3:4], v[5:6], -v[7:8]
	v_fma_f64 v[14:15], -v[9:10], v[12:13], 0.5
	v_add_f64 v[7:8], v[7:8], s[6:7]
	s_mov_b32 s6, 0x2d4ff71e
	s_mov_b32 s7, 0xbfa019f7
	v_fma_f64 v[12:13], v[12:13], v[14:15], v[12:13]
	v_fma_f64 v[9:10], v[9:10], v[14:15], v[9:10]
	v_fma_f64 v[5:6], v[3:4], v[7:8], -v[5:6]
	v_fma_f64 v[14:15], -v[12:13], v[12:13], v[1:2]
	v_add_f64 v[5:6], v[5:6], s[6:7]
	s_mov_b32 s6, 0x9f4e6907
	s_mov_b32 s7, 0x400385bd
	v_fma_f64 v[12:13], v[14:15], v[9:10], v[12:13]
	v_fma_f64 v[3:4], v[3:4], v[5:6], -v[7:8]
	v_fma_f64 v[5:6], -v[12:13], v[12:13], v[1:2]
	v_add_f64 v[3:4], v[3:4], s[6:7]
	v_fma_f64 v[5:6], v[5:6], v[9:10], v[12:13]
	v_add_f64 v[3:4], v[3:4], -v[7:8]
	v_mov_b32_e32 v7, 0xffffff80
	v_mov_b32_e32 v8, 0x260
	v_cndmask_b32_e32 v7, 0, v7, vcc
	v_cmp_class_f64_e32 vcc, v[1:2], v8
	v_ldexp_f64 v[5:6], v[5:6], v7
	v_mul_f64 v[3:4], v[3:4], 0.5
	v_cndmask_b32_e32 v2, v6, v2, vcc
	v_cndmask_b32_e32 v1, v5, v1, vcc
	v_div_scale_f64 v[5:6], s[6:7], v[1:2], v[1:2], v[3:4]
	v_div_scale_f64 v[12:13], vcc, v[3:4], v[1:2], v[3:4]
	v_rcp_f64_e32 v[7:8], v[5:6]
	v_fma_f64 v[9:10], -v[5:6], v[7:8], 1.0
	v_fma_f64 v[7:8], v[7:8], v[9:10], v[7:8]
	v_fma_f64 v[9:10], -v[5:6], v[7:8], 1.0
	v_fma_f64 v[7:8], v[7:8], v[9:10], v[7:8]
	v_mul_f64 v[9:10], v[12:13], v[7:8]
	v_fma_f64 v[5:6], -v[5:6], v[9:10], v[12:13]
	v_div_fmas_f64 v[5:6], v[5:6], v[7:8], v[9:10]
	v_div_fixup_f64 v[3:4], v[5:6], v[1:2], v[3:4]
.LBB7_163:
	s_or_b64 exec, exec, s[0:1]
.LBB7_164:
	s_or_b64 exec, exec, s[4:5]
.LBB7_165:
	s_or_b64 exec, exec, s[2:3]
	v_add_u32_e32 v11, 0x80, v11
	global_store_dwordx2 v0, v[3:4], s[16:17]
	s_or_b64 exec, exec, s[48:49]
	v_cmp_gt_i32_e32 vcc, s55, v11
	s_and_saveexec_b64 s[48:49], vcc
	s_cbranch_execz .LBB7_148
.LBB7_166:
	s_andn2_b64 vcc, exec, s[36:37]
	s_cbranch_vccnz .LBB7_171
; %bb.167:
	s_andn2_b64 vcc, exec, s[46:47]
	s_cbranch_vccnz .LBB7_172
; %bb.168:
	s_add_i32 s56, s56, 1
	s_cmp_eq_u32 s54, 2
	s_cbranch_scc1 .LBB7_173
; %bb.169:
	s_and_b32 s50, s56, 28
	v_mov_b32_e32 v2, 0
	s_mov_b32 s51, 0
	s_mov_b64 s[46:47], s[34:35]
	v_mov_b32_e32 v0, 0
	v_mov_b32_e32 v1, v11
.LBB7_170:                              ; =>This Inner Loop Header: Depth=1
	s_load_dwordx8 s[8:15], s[46:47], 0x4
	s_load_dwordx4 s[28:31], s[46:47], 0x24
	s_load_dwordx8 s[0:7], s[44:45], 0x0
	s_add_u32 s46, s46, 48
	s_addc_u32 s47, s47, 0
	s_waitcnt lgkmcnt(0)
	v_mul_hi_u32 v3, s9, v1
	s_add_i32 s51, s51, 4
	s_add_u32 s44, s44, 32
	s_addc_u32 s45, s45, 0
	v_add_u32_e32 v3, v1, v3
	v_lshrrev_b32_e32 v3, s10, v3
	v_mul_lo_u32 v4, v3, s8
	v_mul_hi_u32 v5, s12, v3
	s_cmp_eq_u32 s50, s51
	v_sub_u32_e32 v1, v1, v4
	v_add_u32_e32 v4, v3, v5
	v_mul_lo_u32 v5, v1, s0
	v_mul_lo_u32 v6, v1, s1
	v_lshrrev_b32_e32 v1, s13, v4
	v_mul_lo_u32 v4, v1, s11
	v_mul_hi_u32 v7, s15, v1
	v_sub_u32_e32 v3, v3, v4
	v_add_u32_e32 v4, v1, v7
	v_lshrrev_b32_e32 v4, s28, v4
	v_mul_hi_u32 v8, s30, v4
	v_mul_lo_u32 v9, v4, s14
	v_mul_lo_u32 v7, v3, s2
	;; [unrolled: 1-line block ×3, first 2 shown]
	v_sub_u32_e32 v9, v1, v9
	v_add_u32_e32 v1, v4, v8
	v_lshrrev_b32_e32 v1, s31, v1
	v_mul_lo_u32 v8, v1, s29
	v_mul_lo_u32 v10, v9, s4
	;; [unrolled: 1-line block ×3, first 2 shown]
	v_add3_u32 v0, v5, v0, v7
	v_sub_u32_e32 v4, v4, v8
	v_mul_lo_u32 v8, v4, s6
	v_mul_lo_u32 v4, v4, s7
	v_add3_u32 v2, v6, v2, v3
	v_add3_u32 v0, v10, v0, v8
	;; [unrolled: 1-line block ×3, first 2 shown]
	s_cbranch_scc0 .LBB7_170
	s_branch .LBB7_174
.LBB7_171:
                                        ; implicit-def: $vgpr0
                                        ; implicit-def: $vgpr2
	s_branch .LBB7_178
.LBB7_172:
	v_mov_b32_e32 v0, 0
	v_mov_b32_e32 v2, 0
	s_branch .LBB7_177
.LBB7_173:
	s_mov_b32 s50, 0
	v_mov_b32_e32 v0, 0
	v_mov_b32_e32 v2, 0
	;; [unrolled: 1-line block ×3, first 2 shown]
.LBB7_174:
	s_and_b32 s4, s56, 3
	s_cmp_eq_u32 s4, 0
	s_cbranch_scc1 .LBB7_177
; %bb.175:
	s_lshl_b32 s0, s50, 3
	s_add_u32 s0, s34, s0
	s_addc_u32 s1, s35, 0
	s_add_u32 s0, s0, 0xc4
	s_addc_u32 s1, s1, 0
	s_mul_i32 s2, s50, 12
	s_add_u32 s2, s34, s2
	s_addc_u32 s3, s35, 0
.LBB7_176:                              ; =>This Inner Loop Header: Depth=1
	s_load_dwordx2 s[6:7], s[2:3], 0x4
	s_load_dword s5, s[2:3], 0xc
	s_load_dwordx2 s[8:9], s[0:1], 0x0
	s_add_u32 s2, s2, 12
	s_addc_u32 s3, s3, 0
	s_waitcnt lgkmcnt(0)
	v_mul_hi_u32 v3, s7, v1
	s_add_u32 s0, s0, 8
	s_addc_u32 s1, s1, 0
	s_add_i32 s4, s4, -1
	v_add_u32_e32 v3, v1, v3
	v_lshrrev_b32_e32 v4, s5, v3
	v_mul_lo_u32 v3, v4, s6
	s_cmp_lg_u32 s4, 0
	v_sub_u32_e32 v3, v1, v3
	v_mad_u64_u32 v[0:1], s[6:7], v3, s8, v[0:1]
	v_mad_u64_u32 v[2:3], s[6:7], v3, s9, v[2:3]
	v_mov_b32_e32 v1, v4
	s_cbranch_scc1 .LBB7_176
.LBB7_177:
	s_cbranch_execnz .LBB7_180
.LBB7_178:
	s_waitcnt lgkmcnt(0)
	v_mul_hi_u32 v0, s25, v11
	s_andn2_b64 vcc, exec, s[42:43]
	v_add_u32_e32 v0, v11, v0
	v_lshrrev_b32_e32 v1, s26, v0
	v_mul_lo_u32 v0, v1, s24
	v_sub_u32_e32 v2, v11, v0
	v_mul_lo_u32 v0, v2, s20
	v_mul_lo_u32 v2, v2, s21
	s_cbranch_vccnz .LBB7_180
; %bb.179:
	v_mul_hi_u32 v3, s40, v1
	v_add_u32_e32 v3, v1, v3
	v_lshrrev_b32_e32 v3, s41, v3
	v_mul_lo_u32 v3, v3, s27
	v_sub_u32_e32 v3, v1, v3
	v_mad_u64_u32 v[0:1], s[0:1], v3, s22, v[0:1]
	v_mad_u64_u32 v[2:3], s[0:1], v3, s23, v[2:3]
.LBB7_180:
	s_waitcnt lgkmcnt(0)
	global_load_dwordx2 v[1:2], v2, s[18:19]
	v_mov_b32_e32 v3, 0
	v_mov_b32_e32 v4, 0x7ff00000
	s_waitcnt vmcnt(0)
	v_cmp_neq_f64_e32 vcc, 0, v[1:2]
	s_and_saveexec_b64 s[2:3], vcc
	s_cbranch_execz .LBB7_188
; %bb.181:
	v_cmp_ngt_f64_e32 vcc, 0, v[1:2]
	v_mov_b32_e32 v3, 0
	v_mov_b32_e32 v4, 0x7ff80000
	s_and_saveexec_b64 s[4:5], vcc
	s_cbranch_execz .LBB7_187
; %bb.182:
	v_cmp_ge_f64_e32 vcc, 2.0, v[1:2]
                                        ; implicit-def: $vgpr3_vgpr4
	s_and_saveexec_b64 s[0:1], vcc
	s_xor_b64 s[6:7], exec, s[0:1]
	s_cbranch_execz .LBB7_184
; %bb.183:
	v_fma_f64 v[3:4], v[1:2], 0.5, -2.0
	v_mov_b32_e32 v5, 0x977da589
	v_mov_b32_e32 v6, 0x3c833362
	s_mov_b32 s1, 0xbc545cb7
	s_mov_b32 s0, 0x2134d0ef
	;; [unrolled: 1-line block ×5, first 2 shown]
	v_fma_f64 v[5:6], v[3:4], s[0:1], v[5:6]
	s_mov_b32 s1, 0x3c545cb7
	s_mov_b32 s27, 0x3fd99999
	;; [unrolled: 1-line block ×7, first 2 shown]
	v_fma_f64 v[7:8], v[3:4], v[5:6], s[0:1]
	s_mov_b32 s0, 0x721ebbb4
	s_mov_b32 s1, 0xbcb184eb
	;; [unrolled: 1-line block ×7, first 2 shown]
	v_add_f64 v[7:8], v[7:8], s[0:1]
	s_mov_b32 s0, 0x93f65eba
	s_mov_b32 s1, 0x3cdee6d8
	;; [unrolled: 1-line block ×7, first 2 shown]
	v_fma_f64 v[5:6], v[3:4], v[7:8], -v[5:6]
	s_mov_b32 s13, 0x3f54b82e
	s_mov_b32 s10, 0x554a9085
	;; [unrolled: 1-line block ×3, first 2 shown]
	v_add_f64 v[5:6], v[5:6], s[0:1]
	s_mov_b32 s0, 0xc297fbeb
	s_mov_b32 s1, 0xbd0a5022
	v_fma_f64 v[7:8], v[3:4], v[5:6], -v[7:8]
	v_add_f64 v[7:8], v[7:8], s[0:1]
	s_mov_b32 s0, 0x4b262627
	s_mov_b32 s1, 0x3d359b46
	v_fma_f64 v[5:6], v[3:4], v[7:8], -v[5:6]
	v_add_f64 v[5:6], v[5:6], s[0:1]
	s_mov_b32 s0, 0x62ee1af0
	s_mov_b32 s1, 0xbd61164c
	v_fma_f64 v[7:8], v[3:4], v[5:6], -v[7:8]
	v_add_f64 v[7:8], v[7:8], s[0:1]
	s_mov_b32 s0, 0xe19bd324
	s_mov_b32 s1, 0x3d89fe2f
	v_fma_f64 v[5:6], v[3:4], v[7:8], -v[5:6]
	v_add_f64 v[9:10], v[5:6], s[0:1]
	v_mul_f64 v[5:6], v[1:2], 0.5
	s_mov_b32 s1, 0x3fe55555
	s_mov_b32 s0, 0x55555555
	v_fma_f64 v[7:8], v[3:4], v[9:10], -v[7:8]
	v_frexp_mant_f64_e32 v[11:12], v[5:6]
	v_frexp_exp_i32_f64_e32 v31, v[5:6]
	v_add_f64 v[7:8], v[7:8], s[8:9]
	v_cmp_gt_f64_e32 vcc, s[0:1], v[11:12]
	s_mov_b32 s8, 0xcc743c10
	s_mov_b32 s9, 0x3dda98be
	;; [unrolled: 1-line block ×3, first 2 shown]
	v_fma_f64 v[9:10], v[3:4], v[7:8], -v[9:10]
	v_cndmask_b32_e64 v13, 0, 1, vcc
	v_ldexp_f64 v[11:12], v[11:12], v13
	v_subbrev_co_u32_e32 v31, vcc, 0, v31, vcc
	v_cvt_f64_i32_e32 v[31:32], v31
	v_add_f64 v[9:10], v[9:10], s[8:9]
	s_mov_b32 s8, 0x13ae9556
	v_add_f64 v[13:14], v[11:12], 1.0
	s_mov_b32 s9, 0xbe01d4fe
	v_add_f64 v[19:20], v[11:12], -1.0
	v_mul_f64 v[33:34], v[31:32], s[28:29]
	v_fma_f64 v[7:8], v[3:4], v[9:10], -v[7:8]
	v_rcp_f64_e32 v[15:16], v[13:14]
	v_add_f64 v[21:22], v[13:14], -1.0
	v_add_f64 v[7:8], v[7:8], s[8:9]
	s_mov_b32 s8, 0xa454cb34
	s_mov_b32 s9, 0x3e26d903
	v_add_f64 v[11:12], v[11:12], -v[21:22]
	v_fma_f64 v[9:10], v[3:4], v[7:8], -v[9:10]
	v_fma_f64 v[17:18], -v[13:14], v[15:16], 1.0
	v_fma_f64 v[15:16], v[17:18], v[15:16], v[15:16]
	v_add_f64 v[17:18], v[9:10], s[8:9]
	s_mov_b32 s8, 0x8c0b30ab
	s_mov_b32 s9, 0xbe4beaf6
	v_fma_f64 v[9:10], -v[13:14], v[15:16], 1.0
	v_fma_f64 v[7:8], v[3:4], v[17:18], -v[7:8]
	v_fma_f64 v[15:16], v[9:10], v[15:16], v[15:16]
	v_add_f64 v[7:8], v[7:8], s[8:9]
	s_mov_b32 s8, 0x9d4d6435
	s_mov_b32 s9, 0x3e703b76
	v_mul_f64 v[9:10], v[19:20], v[15:16]
	v_fma_f64 v[17:18], v[3:4], v[7:8], -v[17:18]
	v_mul_f64 v[23:24], v[13:14], v[9:10]
	v_add_f64 v[17:18], v[17:18], s[8:9]
	s_mov_b32 s8, 0x8f227f8d
	s_mov_b32 s9, 0xbe91ec63
	v_fma_f64 v[13:14], v[9:10], v[13:14], -v[23:24]
	v_fma_f64 v[7:8], v[3:4], v[17:18], -v[7:8]
	v_fma_f64 v[11:12], v[9:10], v[11:12], v[13:14]
	v_add_f64 v[7:8], v[7:8], s[8:9]
	s_mov_b32 s8, 0x978cf4ac
	s_mov_b32 s9, 0x3eb2bf24
	v_add_f64 v[13:14], v[23:24], v[11:12]
	v_fma_f64 v[17:18], v[3:4], v[7:8], -v[17:18]
	v_add_f64 v[21:22], v[19:20], -v[13:14]
	v_add_f64 v[17:18], v[17:18], s[8:9]
	v_add_f64 v[23:24], v[13:14], -v[23:24]
	s_mov_b32 s8, 0xcba56427
	s_mov_b32 s9, 0xbed2866f
	v_add_f64 v[19:20], v[19:20], -v[21:22]
	v_fma_f64 v[7:8], v[3:4], v[17:18], -v[7:8]
	v_add_f64 v[11:12], v[23:24], -v[11:12]
	v_mov_b32_e32 v23, 0x6b47b09a
	v_mov_b32_e32 v24, 0x3fc38538
	v_add_f64 v[13:14], v[19:20], -v[13:14]
	v_add_f64 v[7:8], v[7:8], s[8:9]
	s_mov_b32 s8, 0xbe9a2859
	s_mov_b32 s9, 0x3ef13f58
	v_add_f64 v[11:12], v[11:12], v[13:14]
	v_fma_f64 v[13:14], v[3:4], v[7:8], -v[17:18]
	v_mov_b32_e32 v17, 0xc384c2aa
	v_mov_b32_e32 v18, 0x3d27fb0a
	v_add_f64 v[11:12], v[21:22], v[11:12]
	v_add_f64 v[13:14], v[13:14], s[8:9]
	s_mov_b32 s8, 0x59c41d5a
	s_mov_b32 s9, 0xbf0e2b26
	v_mul_f64 v[11:12], v[15:16], v[11:12]
	v_fma_f64 v[15:16], v[3:4], v[13:14], -v[7:8]
	v_fma_f64 v[7:8], v[1:2], v[1:2], -2.0
	v_add_f64 v[19:20], v[9:10], v[11:12]
	v_add_f64 v[15:16], v[15:16], s[8:9]
	s_mov_b32 s8, 0xbf559e2b
	s_mov_b32 s9, 0x3fc3ab76
	v_fma_f64 v[17:18], v[7:8], s[22:23], v[17:18]
	s_mov_b32 s23, 0xbca3cee1
	v_mul_f64 v[21:22], v[19:20], v[19:20]
	v_fma_f64 v[13:14], v[3:4], v[15:16], -v[13:14]
	v_ldexp_f64 v[27:28], v[19:20], 1
	v_add_f64 v[9:10], v[19:20], -v[9:10]
	v_fma_f64 v[29:30], v[7:8], v[17:18], s[22:23]
	s_mov_b32 s22, 0xf121b6f0
	s_mov_b32 s23, 0xbf984e9e
	v_fma_f64 v[23:24], v[21:22], s[8:9], v[23:24]
	s_mov_b32 s8, 0x74107cab
	s_mov_b32 s9, 0x3f28b51b
	v_add_f64 v[13:14], v[13:14], s[8:9]
	s_mov_b32 s8, 0xd7f4df2e
	s_mov_b32 s9, 0x3fc7474d
	v_mul_f64 v[25:26], v[19:20], v[21:22]
	v_add_f64 v[29:30], v[29:30], s[24:25]
	v_fma_f64 v[23:24], v[21:22], v[23:24], s[8:9]
	s_mov_b32 s8, 0x16291751
	s_mov_b32 s9, 0x3fcc71c0
	v_fma_f64 v[15:16], v[3:4], v[13:14], -v[15:16]
	v_add_f64 v[11:12], v[11:12], -v[9:10]
	v_fma_f64 v[17:18], v[7:8], v[29:30], -v[17:18]
	v_fma_f64 v[23:24], v[21:22], v[23:24], s[8:9]
	s_mov_b32 s8, 0x1f15eb52
	s_mov_b32 s9, 0xbf42e2fd
	v_add_f64 v[15:16], v[15:16], s[8:9]
	s_mov_b32 s8, 0x9b27acf1
	s_mov_b32 s9, 0x3fd24924
	v_ldexp_f64 v[11:12], v[11:12], 1
	v_add_f64 v[17:18], v[17:18], s[20:21]
	v_fma_f64 v[23:24], v[21:22], v[23:24], s[8:9]
	s_mov_b32 s20, 0x623fde64
	s_mov_b32 s21, 0x3ec71dee
	v_fma_f64 v[13:14], v[3:4], v[15:16], -v[13:14]
	s_mov_b32 s8, 0x81213db9
	s_mov_b32 s9, 0x3fd608d8
	v_fma_f64 v[29:30], v[7:8], v[17:18], -v[29:30]
	v_fma_f64 v[23:24], v[21:22], v[23:24], s[26:27]
	s_mov_b32 s26, 0x8a12100e
	s_mov_b32 s27, 0x3f5adc75
	v_add_f64 v[13:14], v[13:14], s[26:27]
	s_mov_b32 s26, 0x652b82fe
	s_mov_b32 s27, 0x3ff71547
	v_add_f64 v[29:30], v[29:30], s[18:19]
	v_fma_f64 v[21:22], v[21:22], v[23:24], s[0:1]
	s_mov_b32 s0, 0x201aa849
	s_mov_b32 s1, 0xbf71b65e
	v_fma_f64 v[15:16], v[3:4], v[13:14], -v[15:16]
	v_mov_b32_e32 v23, 0xfca7ab0c
	v_mov_b32_e32 v24, 0x3e928af3
	s_mov_b32 s18, 0x14761f6e
	v_fma_f64 v[17:18], v[7:8], v[29:30], -v[17:18]
	v_mul_f64 v[21:22], v[25:26], v[21:22]
	v_mul_f64 v[25:26], v[1:2], s[26:27]
	s_mov_b32 s19, 0x3f2a01a0
	v_add_f64 v[15:16], v[15:16], s[0:1]
	s_mov_b32 s0, 0xf3dde3dd
	s_mov_b32 s1, 0x3f859961
	v_add_f64 v[17:18], v[17:18], s[14:15]
	v_add_f64 v[19:20], v[27:28], v[21:22]
	v_rndne_f64_e32 v[9:10], v[25:26]
	v_fma_f64 v[25:26], v[31:32], s[28:29], -v[33:34]
	v_fma_f64 v[13:14], v[3:4], v[15:16], -v[13:14]
	s_mov_b32 s29, 0xbfe62e42
	s_mov_b32 s14, 0x77ac88c0
	;; [unrolled: 1-line block ×3, first 2 shown]
	v_add_f64 v[27:28], v[19:20], -v[27:28]
	v_fma_f64 v[1:2], v[9:10], s[28:29], v[1:2]
	v_fma_f64 v[25:26], v[31:32], s[30:31], v[25:26]
	v_add_f64 v[13:14], v[13:14], s[0:1]
	s_mov_b32 s31, 0xbc7abc9e
	s_mov_b32 s0, 0x6a5dcb37
	;; [unrolled: 1-line block ×3, first 2 shown]
	v_add_f64 v[21:22], v[21:22], -v[27:28]
	v_fma_f64 v[1:2], v[9:10], s[30:31], v[1:2]
	v_fma_f64 v[15:16], v[3:4], v[13:14], -v[15:16]
	v_add_f64 v[11:12], v[11:12], v[21:22]
	v_add_f64 v[21:22], v[33:34], v[25:26]
	v_fma_f64 v[23:24], v[1:2], s[0:1], v[23:24]
	v_add_f64 v[15:16], v[15:16], s[22:23]
	s_mov_b32 s22, 0xcea8a32d
	s_mov_b32 s23, 0x3fa93e8a
	;; [unrolled: 1-line block ×4, first 2 shown]
	v_add_f64 v[27:28], v[19:20], v[11:12]
	v_add_f64 v[33:34], v[21:22], -v[33:34]
	v_fma_f64 v[23:24], v[1:2], v[23:24], s[20:21]
	v_fma_f64 v[13:14], v[3:4], v[15:16], -v[13:14]
	s_mov_b32 s20, 0x1852b7b0
	s_mov_b32 s21, 0x3f56c16c
	v_add_f64 v[31:32], v[21:22], v[27:28]
	v_add_f64 v[19:20], v[27:28], -v[19:20]
	v_fma_f64 v[23:24], v[1:2], v[23:24], s[0:1]
	v_add_f64 v[13:14], v[13:14], s[22:23]
	s_mov_b32 s0, 0x342d06ea
	s_mov_b32 s1, 0xbfb84b70
	v_add_f64 v[25:26], v[25:26], -v[33:34]
	v_add_f64 v[35:36], v[31:32], -v[21:22]
	;; [unrolled: 1-line block ×3, first 2 shown]
	v_fma_f64 v[23:24], v[1:2], v[23:24], s[18:19]
	v_fma_f64 v[15:16], v[3:4], v[13:14], -v[15:16]
	v_add_f64 v[37:38], v[31:32], -v[35:36]
	v_add_f64 v[19:20], v[27:28], -v[35:36]
	v_fma_f64 v[27:28], v[7:8], v[17:18], -v[29:30]
	v_add_f64 v[15:16], v[15:16], s[0:1]
	v_fma_f64 v[23:24], v[1:2], v[23:24], s[20:21]
	s_mov_b32 s0, 0x11122322
	s_mov_b32 s1, 0x3f811111
	v_add_f64 v[29:30], v[25:26], v[11:12]
	v_add_f64 v[21:22], v[21:22], -v[37:38]
	v_fma_f64 v[13:14], v[3:4], v[15:16], -v[13:14]
	v_fma_f64 v[23:24], v[1:2], v[23:24], s[0:1]
	s_mov_b32 s0, 0x555502a1
	s_mov_b32 s1, 0x3fa55555
	v_add_f64 v[19:20], v[19:20], v[21:22]
	v_add_f64 v[21:22], v[27:28], s[12:13]
	s_mov_b32 s12, 0x55555511
	v_add_f64 v[13:14], v[13:14], s[14:15]
	v_fma_f64 v[23:24], v[1:2], v[23:24], s[0:1]
	v_add_f64 v[27:28], v[29:30], -v[25:26]
	s_mov_b32 s0, 0xc057cd8d
	s_mov_b32 s13, 0x3fc55555
	v_add_f64 v[19:20], v[29:30], v[19:20]
	v_fma_f64 v[17:18], v[7:8], v[21:22], -v[17:18]
	s_mov_b32 s1, 0xbfd37feb
	v_fma_f64 v[15:16], v[3:4], v[13:14], -v[15:16]
	v_fma_f64 v[23:24], v[1:2], v[23:24], s[12:13]
	v_add_f64 v[29:30], v[29:30], -v[27:28]
	v_add_f64 v[11:12], v[11:12], -v[27:28]
	v_add_f64 v[33:34], v[31:32], v[19:20]
	v_add_f64 v[17:18], v[17:18], s[10:11]
	;; [unrolled: 1-line block ×3, first 2 shown]
	s_mov_b32 s0, 11
	s_mov_b32 s1, 0x3fe00000
	v_fma_f64 v[23:24], v[1:2], v[23:24], s[0:1]
	v_add_f64 v[25:26], v[25:26], -v[29:30]
	v_add_f64 v[27:28], v[33:34], -v[31:32]
	v_fma_f64 v[21:22], v[7:8], v[17:18], -v[21:22]
	s_mov_b32 s0, 0x9035a22a
	v_fma_f64 v[3:4], v[3:4], v[15:16], -v[13:14]
	s_mov_b32 s1, 0x3fe5a84e
	v_add_f64 v[11:12], v[11:12], v[25:26]
	v_add_f64 v[15:16], v[19:20], -v[27:28]
	v_add_f64 v[19:20], v[21:22], s[8:9]
	v_fma_f64 v[21:22], v[1:2], v[23:24], 1.0
	v_add_f64 v[3:4], v[3:4], s[0:1]
	s_mov_b32 s0, 0xe9d2f61f
	s_mov_b32 s1, 0xbfe12166
	v_add_f64 v[11:12], v[11:12], v[15:16]
	v_fma_f64 v[7:8], v[7:8], v[19:20], -v[17:18]
	v_fma_f64 v[1:2], v[1:2], v[21:22], 1.0
	v_add_f64 v[3:4], v[3:4], -v[13:14]
	v_cvt_i32_f64_e32 v13, v[9:10]
	v_add_f64 v[9:10], v[33:34], v[11:12]
	v_add_f64 v[7:8], v[7:8], s[0:1]
	v_ldexp_f64 v[1:2], v[1:2], v13
	v_mul_f64 v[3:4], v[3:4], 0.5
	s_mov_b32 s0, 0
	s_mov_b32 s1, 0x7ff00000
	v_cmp_neq_f64_e32 vcc, s[0:1], v[5:6]
	v_cmp_neq_f64_e64 s[0:1], 0, v[5:6]
	v_mov_b32_e32 v11, 0x7ff00000
	v_add_f64 v[5:6], v[7:8], -v[17:18]
	v_mul_f64 v[3:4], v[1:2], v[3:4]
	v_cndmask_b32_e32 v10, v11, v10, vcc
	v_mov_b32_e32 v11, 0xfff00000
	s_and_b64 vcc, s[0:1], vcc
	v_cndmask_b32_e64 v8, v11, v10, s[0:1]
	v_cndmask_b32_e32 v7, 0, v9, vcc
	v_mul_f64 v[3:4], v[7:8], v[3:4]
	v_fma_f64 v[3:4], v[5:6], 0.5, -v[3:4]
	v_mul_f64 v[3:4], v[1:2], v[3:4]
                                        ; implicit-def: $vgpr1_vgpr2
.LBB7_184:
	s_andn2_saveexec_b64 s[0:1], s[6:7]
	s_cbranch_execz .LBB7_186
; %bb.185:
	s_mov_b32 s6, 0
	s_mov_b32 s7, 0x40200000
	v_div_scale_f64 v[3:4], s[8:9], v[1:2], v[1:2], s[6:7]
	v_rcp_f64_e32 v[5:6], v[3:4]
	v_fma_f64 v[7:8], -v[3:4], v[5:6], 1.0
	v_fma_f64 v[5:6], v[5:6], v[7:8], v[5:6]
	v_div_scale_f64 v[7:8], vcc, s[6:7], v[1:2], s[6:7]
	v_fma_f64 v[9:10], -v[3:4], v[5:6], 1.0
	v_fma_f64 v[5:6], v[5:6], v[9:10], v[5:6]
	v_mul_f64 v[9:10], v[7:8], v[5:6]
	v_fma_f64 v[3:4], -v[3:4], v[9:10], v[7:8]
	v_div_fmas_f64 v[3:4], v[3:4], v[5:6], v[9:10]
	v_mov_b32_e32 v5, 0x93812603
	v_mov_b32_e32 v6, 0xbc72fecc
	;; [unrolled: 1-line block ×3, first 2 shown]
	v_div_fixup_f64 v[3:4], v[3:4], v[1:2], s[6:7]
	s_mov_b32 s7, 0x3c5871a5
	s_mov_b32 s6, 0xcf8c9ee1
	v_add_f64 v[3:4], v[3:4], -2.0
	v_fma_f64 v[5:6], v[3:4], s[6:7], v[5:6]
	s_mov_b32 s7, 0xbc5871a5
	v_fma_f64 v[7:8], v[3:4], v[5:6], s[6:7]
	s_mov_b32 s6, 0x41a8cdf4
	s_mov_b32 s7, 0x3c8e092e
	v_add_f64 v[7:8], v[7:8], s[6:7]
	s_mov_b32 s6, 0x74d77641
	s_mov_b32 s7, 0xbca82f94
	v_fma_f64 v[5:6], v[3:4], v[7:8], -v[5:6]
	v_add_f64 v[5:6], v[5:6], s[6:7]
	s_mov_b32 s6, 0x6b94785b
	s_mov_b32 s7, 0x3cc3dbf9
	v_fma_f64 v[7:8], v[3:4], v[5:6], -v[7:8]
	;; [unrolled: 4-line block ×17, first 2 shown]
	v_add_f64 v[5:6], v[5:6], s[6:7]
	s_mov_b32 s6, 0
	s_brev_b32 s7, 8
	v_cmp_gt_f64_e32 vcc, s[6:7], v[1:2]
	s_mov_b32 s6, 0xcc7470a9
	s_mov_b32 s7, 0x3eed413f
	v_fma_f64 v[7:8], v[3:4], v[5:6], -v[7:8]
	v_cndmask_b32_e32 v9, 0, v9, vcc
	v_ldexp_f64 v[1:2], v[1:2], v9
	v_add_f64 v[7:8], v[7:8], s[6:7]
	s_mov_b32 s6, 0xe7889f42
	s_mov_b32 s7, 0xbf20d797
	v_rsq_f64_e32 v[9:10], v[1:2]
	v_fma_f64 v[5:6], v[3:4], v[7:8], -v[5:6]
	v_add_f64 v[5:6], v[5:6], s[6:7]
	s_mov_b32 s6, 0xfca79342
	s_mov_b32 s7, 0x3f59b891
	v_mul_f64 v[11:12], v[1:2], v[9:10]
	v_mul_f64 v[9:10], v[9:10], 0.5
	v_fma_f64 v[7:8], v[3:4], v[5:6], -v[7:8]
	v_fma_f64 v[13:14], -v[9:10], v[11:12], 0.5
	v_add_f64 v[7:8], v[7:8], s[6:7]
	s_mov_b32 s6, 0x2d4ff71e
	s_mov_b32 s7, 0xbfa019f7
	v_fma_f64 v[11:12], v[11:12], v[13:14], v[11:12]
	v_fma_f64 v[9:10], v[9:10], v[13:14], v[9:10]
	v_fma_f64 v[5:6], v[3:4], v[7:8], -v[5:6]
	v_fma_f64 v[13:14], -v[11:12], v[11:12], v[1:2]
	v_add_f64 v[5:6], v[5:6], s[6:7]
	s_mov_b32 s6, 0x9f4e6907
	s_mov_b32 s7, 0x400385bd
	v_fma_f64 v[11:12], v[13:14], v[9:10], v[11:12]
	v_fma_f64 v[3:4], v[3:4], v[5:6], -v[7:8]
	v_fma_f64 v[5:6], -v[11:12], v[11:12], v[1:2]
	v_add_f64 v[3:4], v[3:4], s[6:7]
	v_fma_f64 v[5:6], v[5:6], v[9:10], v[11:12]
	v_add_f64 v[3:4], v[3:4], -v[7:8]
	v_mov_b32_e32 v7, 0xffffff80
	v_mov_b32_e32 v8, 0x260
	v_cndmask_b32_e32 v7, 0, v7, vcc
	v_cmp_class_f64_e32 vcc, v[1:2], v8
	v_ldexp_f64 v[5:6], v[5:6], v7
	v_mul_f64 v[3:4], v[3:4], 0.5
	v_cndmask_b32_e32 v2, v6, v2, vcc
	v_cndmask_b32_e32 v1, v5, v1, vcc
	v_div_scale_f64 v[5:6], s[6:7], v[1:2], v[1:2], v[3:4]
	v_div_scale_f64 v[11:12], vcc, v[3:4], v[1:2], v[3:4]
	v_rcp_f64_e32 v[7:8], v[5:6]
	v_fma_f64 v[9:10], -v[5:6], v[7:8], 1.0
	v_fma_f64 v[7:8], v[7:8], v[9:10], v[7:8]
	v_fma_f64 v[9:10], -v[5:6], v[7:8], 1.0
	v_fma_f64 v[7:8], v[7:8], v[9:10], v[7:8]
	v_mul_f64 v[9:10], v[11:12], v[7:8]
	v_fma_f64 v[5:6], -v[5:6], v[9:10], v[11:12]
	v_div_fmas_f64 v[5:6], v[5:6], v[7:8], v[9:10]
	v_div_fixup_f64 v[3:4], v[5:6], v[1:2], v[3:4]
.LBB7_186:
	s_or_b64 exec, exec, s[0:1]
.LBB7_187:
	s_or_b64 exec, exec, s[4:5]
.LBB7_188:
	s_or_b64 exec, exec, s[2:3]
	global_store_dwordx2 v0, v[3:4], s[16:17]
	s_or_b64 exec, exec, s[48:49]
                                        ; implicit-def: $vgpr9
                                        ; implicit-def: $vgpr11
	s_andn2_saveexec_b64 s[0:1], s[38:39]
	s_cbranch_execz .LBB7_149
	s_branch .LBB7_8
	.section	.rodata,"a",@progbits
	.p2align	6, 0x0
	.amdhsa_kernel _ZN2at6native32elementwise_kernel_manual_unrollILi128ELi4EZNS0_22gpu_kernel_impl_nocastIZZZNS0_12_GLOBAL__N_137scaled_modified_bessel_k0_kernel_cudaERNS_18TensorIteratorBaseEENKUlvE_clEvENKUlvE_clEvEUldE_EEvS5_RKT_EUlibE_EEviT1_
		.amdhsa_group_segment_fixed_size 0
		.amdhsa_private_segment_fixed_size 0
		.amdhsa_kernarg_size 360
		.amdhsa_user_sgpr_count 6
		.amdhsa_user_sgpr_private_segment_buffer 1
		.amdhsa_user_sgpr_dispatch_ptr 0
		.amdhsa_user_sgpr_queue_ptr 0
		.amdhsa_user_sgpr_kernarg_segment_ptr 1
		.amdhsa_user_sgpr_dispatch_id 0
		.amdhsa_user_sgpr_flat_scratch_init 0
		.amdhsa_user_sgpr_private_segment_size 0
		.amdhsa_uses_dynamic_stack 0
		.amdhsa_system_sgpr_private_segment_wavefront_offset 0
		.amdhsa_system_sgpr_workgroup_id_x 1
		.amdhsa_system_sgpr_workgroup_id_y 0
		.amdhsa_system_sgpr_workgroup_id_z 0
		.amdhsa_system_sgpr_workgroup_info 0
		.amdhsa_system_vgpr_workitem_id 0
		.amdhsa_next_free_vgpr 50
		.amdhsa_next_free_sgpr 64
		.amdhsa_reserve_vcc 1
		.amdhsa_reserve_flat_scratch 0
		.amdhsa_float_round_mode_32 0
		.amdhsa_float_round_mode_16_64 0
		.amdhsa_float_denorm_mode_32 3
		.amdhsa_float_denorm_mode_16_64 3
		.amdhsa_dx10_clamp 1
		.amdhsa_ieee_mode 1
		.amdhsa_fp16_overflow 0
		.amdhsa_exception_fp_ieee_invalid_op 0
		.amdhsa_exception_fp_denorm_src 0
		.amdhsa_exception_fp_ieee_div_zero 0
		.amdhsa_exception_fp_ieee_overflow 0
		.amdhsa_exception_fp_ieee_underflow 0
		.amdhsa_exception_fp_ieee_inexact 0
		.amdhsa_exception_int_div_zero 0
	.end_amdhsa_kernel
	.section	.text._ZN2at6native32elementwise_kernel_manual_unrollILi128ELi4EZNS0_22gpu_kernel_impl_nocastIZZZNS0_12_GLOBAL__N_137scaled_modified_bessel_k0_kernel_cudaERNS_18TensorIteratorBaseEENKUlvE_clEvENKUlvE_clEvEUldE_EEvS5_RKT_EUlibE_EEviT1_,"axG",@progbits,_ZN2at6native32elementwise_kernel_manual_unrollILi128ELi4EZNS0_22gpu_kernel_impl_nocastIZZZNS0_12_GLOBAL__N_137scaled_modified_bessel_k0_kernel_cudaERNS_18TensorIteratorBaseEENKUlvE_clEvENKUlvE_clEvEUldE_EEvS5_RKT_EUlibE_EEviT1_,comdat
.Lfunc_end7:
	.size	_ZN2at6native32elementwise_kernel_manual_unrollILi128ELi4EZNS0_22gpu_kernel_impl_nocastIZZZNS0_12_GLOBAL__N_137scaled_modified_bessel_k0_kernel_cudaERNS_18TensorIteratorBaseEENKUlvE_clEvENKUlvE_clEvEUldE_EEvS5_RKT_EUlibE_EEviT1_, .Lfunc_end7-_ZN2at6native32elementwise_kernel_manual_unrollILi128ELi4EZNS0_22gpu_kernel_impl_nocastIZZZNS0_12_GLOBAL__N_137scaled_modified_bessel_k0_kernel_cudaERNS_18TensorIteratorBaseEENKUlvE_clEvENKUlvE_clEvEUldE_EEvS5_RKT_EUlibE_EEviT1_
                                        ; -- End function
	.set _ZN2at6native32elementwise_kernel_manual_unrollILi128ELi4EZNS0_22gpu_kernel_impl_nocastIZZZNS0_12_GLOBAL__N_137scaled_modified_bessel_k0_kernel_cudaERNS_18TensorIteratorBaseEENKUlvE_clEvENKUlvE_clEvEUldE_EEvS5_RKT_EUlibE_EEviT1_.num_vgpr, 50
	.set _ZN2at6native32elementwise_kernel_manual_unrollILi128ELi4EZNS0_22gpu_kernel_impl_nocastIZZZNS0_12_GLOBAL__N_137scaled_modified_bessel_k0_kernel_cudaERNS_18TensorIteratorBaseEENKUlvE_clEvENKUlvE_clEvEUldE_EEvS5_RKT_EUlibE_EEviT1_.num_agpr, 0
	.set _ZN2at6native32elementwise_kernel_manual_unrollILi128ELi4EZNS0_22gpu_kernel_impl_nocastIZZZNS0_12_GLOBAL__N_137scaled_modified_bessel_k0_kernel_cudaERNS_18TensorIteratorBaseEENKUlvE_clEvENKUlvE_clEvEUldE_EEvS5_RKT_EUlibE_EEviT1_.numbered_sgpr, 64
	.set _ZN2at6native32elementwise_kernel_manual_unrollILi128ELi4EZNS0_22gpu_kernel_impl_nocastIZZZNS0_12_GLOBAL__N_137scaled_modified_bessel_k0_kernel_cudaERNS_18TensorIteratorBaseEENKUlvE_clEvENKUlvE_clEvEUldE_EEvS5_RKT_EUlibE_EEviT1_.num_named_barrier, 0
	.set _ZN2at6native32elementwise_kernel_manual_unrollILi128ELi4EZNS0_22gpu_kernel_impl_nocastIZZZNS0_12_GLOBAL__N_137scaled_modified_bessel_k0_kernel_cudaERNS_18TensorIteratorBaseEENKUlvE_clEvENKUlvE_clEvEUldE_EEvS5_RKT_EUlibE_EEviT1_.private_seg_size, 0
	.set _ZN2at6native32elementwise_kernel_manual_unrollILi128ELi4EZNS0_22gpu_kernel_impl_nocastIZZZNS0_12_GLOBAL__N_137scaled_modified_bessel_k0_kernel_cudaERNS_18TensorIteratorBaseEENKUlvE_clEvENKUlvE_clEvEUldE_EEvS5_RKT_EUlibE_EEviT1_.uses_vcc, 1
	.set _ZN2at6native32elementwise_kernel_manual_unrollILi128ELi4EZNS0_22gpu_kernel_impl_nocastIZZZNS0_12_GLOBAL__N_137scaled_modified_bessel_k0_kernel_cudaERNS_18TensorIteratorBaseEENKUlvE_clEvENKUlvE_clEvEUldE_EEvS5_RKT_EUlibE_EEviT1_.uses_flat_scratch, 0
	.set _ZN2at6native32elementwise_kernel_manual_unrollILi128ELi4EZNS0_22gpu_kernel_impl_nocastIZZZNS0_12_GLOBAL__N_137scaled_modified_bessel_k0_kernel_cudaERNS_18TensorIteratorBaseEENKUlvE_clEvENKUlvE_clEvEUldE_EEvS5_RKT_EUlibE_EEviT1_.has_dyn_sized_stack, 0
	.set _ZN2at6native32elementwise_kernel_manual_unrollILi128ELi4EZNS0_22gpu_kernel_impl_nocastIZZZNS0_12_GLOBAL__N_137scaled_modified_bessel_k0_kernel_cudaERNS_18TensorIteratorBaseEENKUlvE_clEvENKUlvE_clEvEUldE_EEvS5_RKT_EUlibE_EEviT1_.has_recursion, 0
	.set _ZN2at6native32elementwise_kernel_manual_unrollILi128ELi4EZNS0_22gpu_kernel_impl_nocastIZZZNS0_12_GLOBAL__N_137scaled_modified_bessel_k0_kernel_cudaERNS_18TensorIteratorBaseEENKUlvE_clEvENKUlvE_clEvEUldE_EEvS5_RKT_EUlibE_EEviT1_.has_indirect_call, 0
	.section	.AMDGPU.csdata,"",@progbits
; Kernel info:
; codeLenInByte = 34832
; TotalNumSgprs: 68
; NumVgprs: 50
; ScratchSize: 0
; MemoryBound: 0
; FloatMode: 240
; IeeeMode: 1
; LDSByteSize: 0 bytes/workgroup (compile time only)
; SGPRBlocks: 8
; VGPRBlocks: 12
; NumSGPRsForWavesPerEU: 68
; NumVGPRsForWavesPerEU: 50
; Occupancy: 4
; WaveLimiterHint : 1
; COMPUTE_PGM_RSRC2:SCRATCH_EN: 0
; COMPUTE_PGM_RSRC2:USER_SGPR: 6
; COMPUTE_PGM_RSRC2:TRAP_HANDLER: 0
; COMPUTE_PGM_RSRC2:TGID_X_EN: 1
; COMPUTE_PGM_RSRC2:TGID_Y_EN: 0
; COMPUTE_PGM_RSRC2:TGID_Z_EN: 0
; COMPUTE_PGM_RSRC2:TIDIG_COMP_CNT: 0
	.section	.text._ZN2at6native32elementwise_kernel_manual_unrollILi128ELi4EZNS0_15gpu_kernel_implIZZZNS0_12_GLOBAL__N_137scaled_modified_bessel_k0_kernel_cudaERNS_18TensorIteratorBaseEENKUlvE_clEvENKUlvE_clEvEUldE_EEvS5_RKT_EUlibE_EEviT1_,"axG",@progbits,_ZN2at6native32elementwise_kernel_manual_unrollILi128ELi4EZNS0_15gpu_kernel_implIZZZNS0_12_GLOBAL__N_137scaled_modified_bessel_k0_kernel_cudaERNS_18TensorIteratorBaseEENKUlvE_clEvENKUlvE_clEvEUldE_EEvS5_RKT_EUlibE_EEviT1_,comdat
	.globl	_ZN2at6native32elementwise_kernel_manual_unrollILi128ELi4EZNS0_15gpu_kernel_implIZZZNS0_12_GLOBAL__N_137scaled_modified_bessel_k0_kernel_cudaERNS_18TensorIteratorBaseEENKUlvE_clEvENKUlvE_clEvEUldE_EEvS5_RKT_EUlibE_EEviT1_ ; -- Begin function _ZN2at6native32elementwise_kernel_manual_unrollILi128ELi4EZNS0_15gpu_kernel_implIZZZNS0_12_GLOBAL__N_137scaled_modified_bessel_k0_kernel_cudaERNS_18TensorIteratorBaseEENKUlvE_clEvENKUlvE_clEvEUldE_EEvS5_RKT_EUlibE_EEviT1_
	.p2align	8
	.type	_ZN2at6native32elementwise_kernel_manual_unrollILi128ELi4EZNS0_15gpu_kernel_implIZZZNS0_12_GLOBAL__N_137scaled_modified_bessel_k0_kernel_cudaERNS_18TensorIteratorBaseEENKUlvE_clEvENKUlvE_clEvEUldE_EEvS5_RKT_EUlibE_EEviT1_,@function
_ZN2at6native32elementwise_kernel_manual_unrollILi128ELi4EZNS0_15gpu_kernel_implIZZZNS0_12_GLOBAL__N_137scaled_modified_bessel_k0_kernel_cudaERNS_18TensorIteratorBaseEENKUlvE_clEvENKUlvE_clEvEUldE_EEvS5_RKT_EUlibE_EEviT1_: ; @_ZN2at6native32elementwise_kernel_manual_unrollILi128ELi4EZNS0_15gpu_kernel_implIZZZNS0_12_GLOBAL__N_137scaled_modified_bessel_k0_kernel_cudaERNS_18TensorIteratorBaseEENKUlvE_clEvENKUlvE_clEvEUldE_EEvS5_RKT_EUlibE_EEviT1_
; %bb.0:
	v_mov_b32_e32 v1, 0
	global_load_ushort v1, v1, s[4:5] offset:33
	s_load_dwordx4 s[8:11], s[4:5], 0x8
	s_load_dwordx2 s[2:3], s[4:5], 0x18
	s_load_dword s55, s[4:5], 0x0
	v_lshl_or_b32 v26, s6, 9, v0
	v_or_b32_e32 v0, 0x180, v26
	s_mov_b64 s[12:13], 0
	s_mov_b64 s[6:7], 0
	s_waitcnt lgkmcnt(0)
	v_cmp_le_i32_e32 vcc, s55, v0
	s_waitcnt vmcnt(0)
	v_readfirstlane_b32 s33, v1
	s_and_b32 s0, 0xffff, s33
	s_lshr_b32 s54, s0, 8
	s_and_saveexec_b64 s[0:1], vcc
	s_xor_b64 s[4:5], exec, s[0:1]
	s_cbranch_execz .LBB8_1059
; %bb.1:
	v_cmp_gt_i32_e32 vcc, s55, v26
	s_mov_b64 s[18:19], -1
	s_mov_b64 s[20:21], 0
	s_mov_b64 s[14:15], 0
	s_and_saveexec_b64 s[16:17], vcc
	s_cbranch_execz .LBB8_260
; %bb.2:
	v_mul_lo_u32 v0, v26, s3
	v_mov_b32_e32 v1, s11
	s_and_b32 s22, 0xffff, s54
	s_cmp_lt_i32 s22, 11
	v_ashrrev_i32_e32 v2, 31, v0
	v_add_co_u32_e32 v0, vcc, s10, v0
	v_addc_co_u32_e32 v1, vcc, v1, v2, vcc
	s_cbranch_scc1 .LBB8_9
; %bb.3:
	s_cmp_gt_i32 s22, 25
	s_cbranch_scc0 .LBB8_26
; %bb.4:
	s_cmp_gt_i32 s22, 28
	s_cbranch_scc0 .LBB8_30
	;; [unrolled: 3-line block ×4, first 2 shown]
; %bb.7:
	s_cmp_eq_u32 s22, 46
	s_cbranch_scc0 .LBB8_36
; %bb.8:
	global_load_dword v2, v[0:1], off
	s_mov_b64 s[0:1], -1
	s_waitcnt vmcnt(0)
	v_lshlrev_b32_e32 v2, 16, v2
	v_cvt_f64_f32_e32 v[2:3], v2
	s_branch .LBB8_38
.LBB8_9:
                                        ; implicit-def: $vgpr2_vgpr3
	s_mov_b64 s[0:1], 0
	s_cbranch_execnz .LBB8_211
.LBB8_10:
	s_andn2_b64 vcc, exec, s[0:1]
	s_cbranch_vccnz .LBB8_258
.LBB8_11:
	s_waitcnt vmcnt(0)
	v_cmp_neq_f64_e32 vcc, 0, v[2:3]
	v_mov_b32_e32 v0, 0
	v_mov_b32_e32 v1, 0x7ff00000
	s_and_saveexec_b64 s[6:7], vcc
	s_cbranch_execz .LBB8_19
; %bb.12:
	v_cmp_ngt_f64_e32 vcc, 0, v[2:3]
	v_mov_b32_e32 v0, 0
	v_mov_b32_e32 v1, 0x7ff80000
	s_and_saveexec_b64 s[18:19], vcc
	s_cbranch_execz .LBB8_18
; %bb.13:
	v_cmp_ge_f64_e32 vcc, 2.0, v[2:3]
                                        ; implicit-def: $vgpr0_vgpr1
	s_and_saveexec_b64 s[0:1], vcc
	s_xor_b64 s[22:23], exec, s[0:1]
	s_cbranch_execz .LBB8_15
; %bb.14:
	v_fma_f64 v[0:1], v[2:3], 0.5, -2.0
	v_mov_b32_e32 v4, 0x977da589
	v_mov_b32_e32 v5, 0x3c833362
	s_mov_b32 s1, 0xbc545cb7
	s_mov_b32 s0, 0x2134d0ef
	;; [unrolled: 1-line block ×5, first 2 shown]
	v_fma_f64 v[4:5], v[0:1], s[0:1], v[4:5]
	s_mov_b32 s1, 0x3c545cb7
	s_mov_b32 s27, 0x3fc7474d
	;; [unrolled: 1-line block ×7, first 2 shown]
	v_fma_f64 v[6:7], v[0:1], v[4:5], s[0:1]
	s_mov_b32 s0, 0x721ebbb4
	s_mov_b32 s1, 0xbcb184eb
	;; [unrolled: 1-line block ×7, first 2 shown]
	v_add_f64 v[6:7], v[6:7], s[0:1]
	s_mov_b32 s0, 0x93f65eba
	s_mov_b32 s1, 0x3cdee6d8
	;; [unrolled: 1-line block ×7, first 2 shown]
	v_fma_f64 v[4:5], v[0:1], v[6:7], -v[4:5]
	s_mov_b32 s47, 0x3ff71547
	s_mov_b32 s42, 0x342d06ea
	;; [unrolled: 1-line block ×3, first 2 shown]
	v_add_f64 v[4:5], v[4:5], s[0:1]
	s_mov_b32 s0, 0xc297fbeb
	s_mov_b32 s1, 0xbd0a5022
	v_fma_f64 v[6:7], v[0:1], v[4:5], -v[6:7]
	v_add_f64 v[6:7], v[6:7], s[0:1]
	s_mov_b32 s0, 0x4b262627
	s_mov_b32 s1, 0x3d359b46
	v_fma_f64 v[4:5], v[0:1], v[6:7], -v[4:5]
	v_add_f64 v[4:5], v[4:5], s[0:1]
	s_mov_b32 s0, 0x62ee1af0
	s_mov_b32 s1, 0xbd61164c
	v_fma_f64 v[6:7], v[0:1], v[4:5], -v[6:7]
	v_add_f64 v[6:7], v[6:7], s[0:1]
	s_mov_b32 s0, 0xe19bd324
	s_mov_b32 s1, 0x3d89fe2f
	v_fma_f64 v[4:5], v[0:1], v[6:7], -v[4:5]
	v_add_f64 v[8:9], v[4:5], s[0:1]
	v_mul_f64 v[4:5], v[2:3], 0.5
	s_mov_b32 s1, 0x3fe55555
	s_mov_b32 s0, 0x55555555
	v_fma_f64 v[6:7], v[0:1], v[8:9], -v[6:7]
	v_frexp_mant_f64_e32 v[10:11], v[4:5]
	v_frexp_exp_i32_f64_e32 v27, v[4:5]
	v_add_f64 v[6:7], v[6:7], s[24:25]
	v_cmp_gt_f64_e32 vcc, s[0:1], v[10:11]
	s_mov_b32 s24, 0xcc743c10
	s_mov_b32 s25, 0x3dda98be
	;; [unrolled: 1-line block ×3, first 2 shown]
	v_fma_f64 v[8:9], v[0:1], v[6:7], -v[8:9]
	v_cndmask_b32_e64 v12, 0, 1, vcc
	v_ldexp_f64 v[10:11], v[10:11], v12
	v_subbrev_co_u32_e32 v27, vcc, 0, v27, vcc
	v_cvt_f64_i32_e32 v[27:28], v27
	v_add_f64 v[8:9], v[8:9], s[24:25]
	s_mov_b32 s24, 0x13ae9556
	v_add_f64 v[12:13], v[10:11], 1.0
	s_mov_b32 s25, 0xbe01d4fe
	v_add_f64 v[18:19], v[10:11], -1.0
	v_fma_f64 v[6:7], v[0:1], v[8:9], -v[6:7]
	v_rcp_f64_e32 v[14:15], v[12:13]
	v_add_f64 v[20:21], v[12:13], -1.0
	v_add_f64 v[6:7], v[6:7], s[24:25]
	s_mov_b32 s24, 0xa454cb34
	s_mov_b32 s25, 0x3e26d903
	v_add_f64 v[10:11], v[10:11], -v[20:21]
	v_fma_f64 v[8:9], v[0:1], v[6:7], -v[8:9]
	v_fma_f64 v[16:17], -v[12:13], v[14:15], 1.0
	v_add_f64 v[8:9], v[8:9], s[24:25]
	s_mov_b32 s24, 0x8c0b30ab
	v_fma_f64 v[14:15], v[16:17], v[14:15], v[14:15]
	s_mov_b32 s25, 0xbe4beaf6
	v_fma_f64 v[6:7], v[0:1], v[8:9], -v[6:7]
	v_fma_f64 v[16:17], -v[12:13], v[14:15], 1.0
	v_fma_f64 v[14:15], v[16:17], v[14:15], v[14:15]
	v_add_f64 v[16:17], v[6:7], s[24:25]
	s_mov_b32 s24, 0x9d4d6435
	s_mov_b32 s25, 0x3e703b76
	v_mul_f64 v[6:7], v[18:19], v[14:15]
	v_fma_f64 v[8:9], v[0:1], v[16:17], -v[8:9]
	v_mul_f64 v[22:23], v[12:13], v[6:7]
	v_add_f64 v[8:9], v[8:9], s[24:25]
	s_mov_b32 s24, 0x8f227f8d
	s_mov_b32 s25, 0xbe91ec63
	v_fma_f64 v[12:13], v[6:7], v[12:13], -v[22:23]
	v_fma_f64 v[16:17], v[0:1], v[8:9], -v[16:17]
	v_fma_f64 v[10:11], v[6:7], v[10:11], v[12:13]
	v_add_f64 v[12:13], v[16:17], s[24:25]
	s_mov_b32 s24, 0x978cf4ac
	s_mov_b32 s25, 0x3eb2bf24
	v_add_f64 v[16:17], v[22:23], v[10:11]
	v_fma_f64 v[8:9], v[0:1], v[12:13], -v[8:9]
	v_add_f64 v[20:21], v[18:19], -v[16:17]
	v_add_f64 v[8:9], v[8:9], s[24:25]
	v_add_f64 v[22:23], v[16:17], -v[22:23]
	s_mov_b32 s24, 0xcba56427
	s_mov_b32 s25, 0xbed2866f
	v_add_f64 v[18:19], v[18:19], -v[20:21]
	v_fma_f64 v[12:13], v[0:1], v[8:9], -v[12:13]
	v_add_f64 v[10:11], v[22:23], -v[10:11]
	v_mov_b32_e32 v22, 0xc384c2aa
	v_mov_b32_e32 v23, 0x3d27fb0a
	v_add_f64 v[16:17], v[18:19], -v[16:17]
	v_add_f64 v[12:13], v[12:13], s[24:25]
	s_mov_b32 s24, 0xbe9a2859
	s_mov_b32 s25, 0x3ef13f58
	v_add_f64 v[10:11], v[10:11], v[16:17]
	v_fma_f64 v[8:9], v[0:1], v[12:13], -v[8:9]
	v_add_f64 v[10:11], v[20:21], v[10:11]
	v_add_f64 v[16:17], v[8:9], s[24:25]
	s_mov_b32 s24, 0x59c41d5a
	s_mov_b32 s25, 0xbf0e2b26
	v_mul_f64 v[8:9], v[14:15], v[10:11]
	v_fma_f64 v[12:13], v[0:1], v[16:17], -v[12:13]
	v_mov_b32_e32 v14, 0x6b47b09a
	v_mov_b32_e32 v15, 0x3fc38538
	v_add_f64 v[10:11], v[6:7], v[8:9]
	v_add_f64 v[18:19], v[12:13], s[24:25]
	s_mov_b32 s24, 0xbf559e2b
	s_mov_b32 s25, 0x3fc3ab76
	v_mul_f64 v[12:13], v[10:11], v[10:11]
	v_fma_f64 v[16:17], v[0:1], v[18:19], -v[16:17]
	v_add_f64 v[6:7], v[10:11], -v[6:7]
	v_fma_f64 v[14:15], v[12:13], s[24:25], v[14:15]
	s_mov_b32 s24, 0x74107cab
	s_mov_b32 s25, 0x3f28b51b
	v_add_f64 v[16:17], v[16:17], s[24:25]
	v_mul_f64 v[24:25], v[10:11], v[12:13]
	s_mov_b32 s25, 0x3fe62e42
	s_mov_b32 s24, 0xfefa39ef
	v_mul_f64 v[31:32], v[27:28], s[24:25]
	v_fma_f64 v[14:15], v[12:13], v[14:15], s[26:27]
	v_add_f64 v[8:9], v[8:9], -v[6:7]
	s_mov_b32 s27, 0x3c7abc9e
	v_fma_f64 v[18:19], v[0:1], v[16:17], -v[18:19]
	s_mov_b32 s26, 0x3b39803f
	v_fma_f64 v[14:15], v[12:13], v[14:15], s[30:31]
	s_mov_b32 s30, 0xf3dde3dd
	s_mov_b32 s31, 0x3f859961
	v_add_f64 v[18:19], v[18:19], s[34:35]
	v_ldexp_f64 v[8:9], v[8:9], 1
	s_mov_b32 s34, 0xf121b6f0
	s_mov_b32 s35, 0xbf984e9e
	v_fma_f64 v[20:21], v[12:13], v[14:15], s[38:39]
	v_fma_f64 v[14:15], v[2:3], v[2:3], -2.0
	s_mov_b32 s38, 0xcea8a32d
	v_fma_f64 v[16:17], v[0:1], v[18:19], -v[16:17]
	s_mov_b32 s39, 0x3fa93e8a
	v_fma_f64 v[20:21], v[12:13], v[20:21], s[28:29]
	v_fma_f64 v[22:23], v[14:15], s[44:45], v[22:23]
	s_mov_b32 s45, 0xbca3cee1
	v_add_f64 v[16:17], v[16:17], s[40:41]
	s_mov_b32 s40, 0x47512144
	s_mov_b32 s41, 0x3da6c25c
	;; [unrolled: 1-line block ×4, first 2 shown]
	v_fma_f64 v[12:13], v[12:13], v[20:21], s[0:1]
	v_ldexp_f64 v[20:21], v[10:11], 1
	v_fma_f64 v[29:30], v[14:15], v[22:23], s[44:45]
	v_fma_f64 v[18:19], v[0:1], v[16:17], -v[18:19]
	s_mov_b32 s0, 0x77ac88c0
	s_mov_b32 s1, 0x3fc5f7ac
	v_mul_f64 v[12:13], v[24:25], v[12:13]
	v_mul_f64 v[24:25], v[2:3], s[46:47]
	v_add_f64 v[18:19], v[18:19], s[36:37]
	s_mov_b32 s36, 0x67e58a13
	s_mov_b32 s37, 0x3e205c13
	v_add_f64 v[10:11], v[20:21], v[12:13]
	v_rndne_f64_e32 v[6:7], v[24:25]
	v_add_f64 v[24:25], v[29:30], s[40:41]
	v_fma_f64 v[16:17], v[0:1], v[18:19], -v[16:17]
	v_fma_f64 v[29:30], v[27:28], s[24:25], -v[31:32]
	s_mov_b32 s25, 0xbfe62e42
	v_add_f64 v[20:21], v[10:11], -v[20:21]
	v_fma_f64 v[2:3], v[6:7], s[24:25], v[2:3]
	v_fma_f64 v[22:23], v[14:15], v[24:25], -v[22:23]
	v_add_f64 v[16:17], v[16:17], s[30:31]
	v_fma_f64 v[27:28], v[27:28], s[26:27], v[29:30]
	s_mov_b32 s27, 0xbc7abc9e
	s_mov_b32 s24, 0x6a5dcb37
	;; [unrolled: 1-line block ×3, first 2 shown]
	v_add_f64 v[12:13], v[12:13], -v[20:21]
	v_fma_f64 v[2:3], v[6:7], s[26:27], v[2:3]
	v_mov_b32_e32 v20, 0xfca7ab0c
	v_fma_f64 v[18:19], v[0:1], v[16:17], -v[18:19]
	v_mov_b32_e32 v21, 0x3e928af3
	s_mov_b32 s26, 0x623fde64
	s_mov_b32 s27, 0x3ec71dee
	;; [unrolled: 1-line block ×3, first 2 shown]
	v_add_f64 v[8:9], v[8:9], v[12:13]
	v_fma_f64 v[20:21], v[2:3], s[24:25], v[20:21]
	s_mov_b32 s24, 0xe7f95efc
	v_add_f64 v[12:13], v[18:19], s[34:35]
	v_add_f64 v[18:19], v[22:23], s[36:37]
	;; [unrolled: 1-line block ×3, first 2 shown]
	s_mov_b32 s25, 0x3e9102bc
	s_mov_b32 s31, 0x3efa0199
	v_add_f64 v[29:30], v[10:11], v[8:9]
	v_fma_f64 v[20:21], v[2:3], v[20:21], s[26:27]
	s_mov_b32 s26, 0xfe8cfca0
	v_fma_f64 v[16:17], v[0:1], v[12:13], -v[16:17]
	v_fma_f64 v[24:25], v[14:15], v[18:19], -v[24:25]
	s_mov_b32 s27, 0x3ef7f900
	v_add_f64 v[31:32], v[22:23], -v[31:32]
	v_add_f64 v[33:34], v[22:23], v[29:30]
	v_fma_f64 v[20:21], v[2:3], v[20:21], s[30:31]
	v_add_f64 v[10:11], v[29:30], -v[10:11]
	v_add_f64 v[16:17], v[16:17], s[38:39]
	v_add_f64 v[24:25], v[24:25], s[24:25]
	s_mov_b32 s24, 0x14761f6e
	s_mov_b32 s25, 0x3f2a01a0
	;; [unrolled: 1-line block ×3, first 2 shown]
	v_add_f64 v[35:36], v[33:34], -v[22:23]
	v_fma_f64 v[20:21], v[2:3], v[20:21], s[24:25]
	s_mov_b32 s31, 0x3f56c16c
	v_fma_f64 v[12:13], v[0:1], v[16:17], -v[12:13]
	v_fma_f64 v[18:19], v[14:15], v[24:25], -v[18:19]
	v_add_f64 v[27:28], v[27:28], -v[31:32]
	v_add_f64 v[8:9], v[8:9], -v[10:11]
	s_mov_b32 s24, 0x11122322
	v_add_f64 v[37:38], v[33:34], -v[35:36]
	v_fma_f64 v[20:21], v[2:3], v[20:21], s[30:31]
	v_add_f64 v[10:11], v[29:30], -v[35:36]
	v_add_f64 v[12:13], v[12:13], s[42:43]
	v_add_f64 v[18:19], v[18:19], s[26:27]
	s_mov_b32 s25, 0x3f811111
	s_mov_b32 s26, 0x75633d73
	;; [unrolled: 1-line block ×3, first 2 shown]
	v_add_f64 v[22:23], v[22:23], -v[37:38]
	v_fma_f64 v[20:21], v[2:3], v[20:21], s[24:25]
	v_add_f64 v[29:30], v[27:28], v[8:9]
	v_fma_f64 v[16:17], v[0:1], v[12:13], -v[16:17]
	v_fma_f64 v[24:25], v[14:15], v[18:19], -v[24:25]
	s_mov_b32 s24, 0x55555511
	s_mov_b32 s25, 0x3fc55555
	v_add_f64 v[10:11], v[10:11], v[22:23]
	v_add_f64 v[16:17], v[16:17], s[0:1]
	;; [unrolled: 1-line block ×3, first 2 shown]
	s_mov_b32 s0, 0x555502a1
	s_mov_b32 s1, 0x3fa55555
	v_fma_f64 v[20:21], v[2:3], v[20:21], s[0:1]
	v_add_f64 v[24:25], v[29:30], -v[27:28]
	v_add_f64 v[10:11], v[29:30], v[10:11]
	s_mov_b32 s0, 0x554a9085
	v_fma_f64 v[12:13], v[0:1], v[16:17], -v[12:13]
	v_fma_f64 v[18:19], v[14:15], v[22:23], -v[18:19]
	s_mov_b32 s1, 0x3fa26bf6
	v_fma_f64 v[20:21], v[2:3], v[20:21], s[24:25]
	v_add_f64 v[29:30], v[29:30], -v[24:25]
	v_add_f64 v[31:32], v[33:34], v[10:11]
	v_add_f64 v[8:9], v[8:9], -v[24:25]
	v_add_f64 v[12:13], v[12:13], s[28:29]
	v_add_f64 v[18:19], v[18:19], s[0:1]
	s_mov_b32 s0, 11
	s_mov_b32 s1, 0x3fe00000
	v_fma_f64 v[20:21], v[2:3], v[20:21], s[0:1]
	v_add_f64 v[24:25], v[27:28], -v[29:30]
	v_add_f64 v[27:28], v[31:32], -v[33:34]
	s_mov_b32 s0, 0x9035a22a
	v_fma_f64 v[0:1], v[0:1], v[12:13], -v[16:17]
	v_fma_f64 v[12:13], v[14:15], v[18:19], -v[22:23]
	s_mov_b32 s1, 0x3fe5a84e
	s_mov_b32 s24, 0x81213db9
	v_fma_f64 v[20:21], v[2:3], v[20:21], 1.0
	s_mov_b32 s25, 0x3fd608d8
	v_add_f64 v[8:9], v[8:9], v[24:25]
	v_add_f64 v[10:11], v[10:11], -v[27:28]
	v_add_f64 v[0:1], v[0:1], s[0:1]
	v_add_f64 v[12:13], v[12:13], s[24:25]
	s_mov_b32 s0, 0xe9d2f61f
	s_mov_b32 s24, 0
	v_fma_f64 v[2:3], v[2:3], v[20:21], 1.0
	s_mov_b32 s1, 0xbfe12166
	s_mov_b32 s25, 0x7ff00000
	v_add_f64 v[8:9], v[8:9], v[10:11]
	v_add_f64 v[0:1], v[0:1], -v[16:17]
	v_fma_f64 v[10:11], v[14:15], v[12:13], -v[18:19]
	v_cvt_i32_f64_e32 v12, v[6:7]
	v_cmp_neq_f64_e32 vcc, s[24:25], v[4:5]
	v_ldexp_f64 v[2:3], v[2:3], v12
	v_add_f64 v[6:7], v[31:32], v[8:9]
	v_mul_f64 v[0:1], v[0:1], 0.5
	v_add_f64 v[8:9], v[10:11], s[0:1]
	v_cmp_neq_f64_e64 s[0:1], 0, v[4:5]
	v_mov_b32_e32 v10, 0x7ff00000
	v_cndmask_b32_e32 v7, v10, v7, vcc
	v_mul_f64 v[0:1], v[2:3], v[0:1]
	v_mov_b32_e32 v10, 0xfff00000
	s_and_b64 vcc, s[0:1], vcc
	v_cndmask_b32_e64 v7, v10, v7, s[0:1]
	v_cndmask_b32_e32 v6, 0, v6, vcc
	v_add_f64 v[4:5], v[8:9], -v[18:19]
	v_mul_f64 v[0:1], v[6:7], v[0:1]
	v_fma_f64 v[0:1], v[4:5], 0.5, -v[0:1]
	v_mul_f64 v[0:1], v[2:3], v[0:1]
                                        ; implicit-def: $vgpr2_vgpr3
.LBB8_15:
	s_andn2_saveexec_b64 s[0:1], s[22:23]
	s_cbranch_execz .LBB8_17
; %bb.16:
	s_mov_b32 s22, 0
	s_mov_b32 s23, 0x40200000
	v_div_scale_f64 v[0:1], s[24:25], v[2:3], v[2:3], s[22:23]
	v_rcp_f64_e32 v[4:5], v[0:1]
	v_fma_f64 v[6:7], -v[0:1], v[4:5], 1.0
	v_fma_f64 v[4:5], v[4:5], v[6:7], v[4:5]
	v_div_scale_f64 v[6:7], vcc, s[22:23], v[2:3], s[22:23]
	v_fma_f64 v[8:9], -v[0:1], v[4:5], 1.0
	v_fma_f64 v[4:5], v[4:5], v[8:9], v[4:5]
	v_mul_f64 v[8:9], v[6:7], v[4:5]
	v_fma_f64 v[0:1], -v[0:1], v[8:9], v[6:7]
	v_div_fmas_f64 v[0:1], v[0:1], v[4:5], v[8:9]
	v_mov_b32_e32 v4, 0x93812603
	v_mov_b32_e32 v5, 0xbc72fecc
	;; [unrolled: 1-line block ×3, first 2 shown]
	v_div_fixup_f64 v[0:1], v[0:1], v[2:3], s[22:23]
	s_mov_b32 s23, 0x3c5871a5
	s_mov_b32 s22, 0xcf8c9ee1
	v_add_f64 v[0:1], v[0:1], -2.0
	v_fma_f64 v[4:5], v[0:1], s[22:23], v[4:5]
	s_mov_b32 s23, 0xbc5871a5
	v_fma_f64 v[6:7], v[0:1], v[4:5], s[22:23]
	s_mov_b32 s22, 0x41a8cdf4
	s_mov_b32 s23, 0x3c8e092e
	v_add_f64 v[6:7], v[6:7], s[22:23]
	s_mov_b32 s22, 0x74d77641
	s_mov_b32 s23, 0xbca82f94
	v_fma_f64 v[4:5], v[0:1], v[6:7], -v[4:5]
	v_add_f64 v[4:5], v[4:5], s[22:23]
	s_mov_b32 s22, 0x6b94785b
	s_mov_b32 s23, 0x3cc3dbf9
	v_fma_f64 v[6:7], v[0:1], v[4:5], -v[6:7]
	v_add_f64 v[6:7], v[6:7], s[22:23]
	s_mov_b32 s22, 0xecfadd36
	s_mov_b32 s23, 0xbce0a690
	v_fma_f64 v[4:5], v[0:1], v[6:7], -v[4:5]
	v_add_f64 v[4:5], v[4:5], s[22:23]
	s_mov_b32 s22, 0x4a7ddc98
	s_mov_b32 s23, 0x3cfc8d9c
	v_fma_f64 v[6:7], v[0:1], v[4:5], -v[6:7]
	v_add_f64 v[6:7], v[6:7], s[22:23]
	s_mov_b32 s22, 0xbb056fc2
	s_mov_b32 s23, 0xbd19145e
	v_fma_f64 v[4:5], v[0:1], v[6:7], -v[4:5]
	v_add_f64 v[4:5], v[4:5], s[22:23]
	s_mov_b32 s22, 0xcd94cfe2
	s_mov_b32 s23, 0x3d369c4e
	v_fma_f64 v[6:7], v[0:1], v[4:5], -v[6:7]
	v_add_f64 v[6:7], v[6:7], s[22:23]
	s_mov_b32 s22, 0x21a470d1
	s_mov_b32 s23, 0xbd54f877
	v_fma_f64 v[4:5], v[0:1], v[6:7], -v[4:5]
	v_add_f64 v[4:5], v[4:5], s[22:23]
	s_mov_b32 s22, 0x2fccfc25
	s_mov_b32 s23, 0x3d740fa3
	v_fma_f64 v[6:7], v[0:1], v[4:5], -v[6:7]
	v_add_f64 v[6:7], v[6:7], s[22:23]
	s_mov_b32 s22, 0x3f005143
	s_mov_b32 s23, 0xbd93dafc
	v_fma_f64 v[4:5], v[0:1], v[6:7], -v[4:5]
	v_add_f64 v[4:5], v[4:5], s[22:23]
	s_mov_b32 s22, 0x475fbcc7
	s_mov_b32 s23, 0x3db46808
	v_fma_f64 v[6:7], v[0:1], v[4:5], -v[6:7]
	v_add_f64 v[6:7], v[6:7], s[22:23]
	s_mov_b32 s22, 0xd2e7c935
	s_mov_b32 s23, 0xbdd5df95
	v_fma_f64 v[4:5], v[0:1], v[6:7], -v[4:5]
	v_add_f64 v[4:5], v[4:5], s[22:23]
	s_mov_b32 s22, 0x819ff608
	s_mov_b32 s23, 0x3df8956c
	v_fma_f64 v[6:7], v[0:1], v[4:5], -v[6:7]
	v_add_f64 v[6:7], v[6:7], s[22:23]
	s_mov_b32 s22, 0xf22bf5db
	s_mov_b32 s23, 0xbe1d29d5
	v_fma_f64 v[4:5], v[0:1], v[6:7], -v[4:5]
	v_add_f64 v[4:5], v[4:5], s[22:23]
	s_mov_b32 s22, 0x33f428e
	s_mov_b32 s23, 0x3e4269a0
	v_fma_f64 v[6:7], v[0:1], v[4:5], -v[6:7]
	v_add_f64 v[6:7], v[6:7], s[22:23]
	s_mov_b32 s22, 0x1b54f2af
	s_mov_b32 s23, 0xbe690554
	v_fma_f64 v[4:5], v[0:1], v[6:7], -v[4:5]
	v_add_f64 v[4:5], v[4:5], s[22:23]
	s_mov_b32 s22, 0x81e3e46f
	s_mov_b32 s23, 0x3e929159
	v_fma_f64 v[6:7], v[0:1], v[4:5], -v[6:7]
	v_add_f64 v[6:7], v[6:7], s[22:23]
	s_mov_b32 s22, 0x7f18d3a9
	s_mov_b32 s23, 0xbebebb54
	v_fma_f64 v[4:5], v[0:1], v[6:7], -v[4:5]
	v_add_f64 v[4:5], v[4:5], s[22:23]
	s_mov_b32 s22, 0
	s_brev_b32 s23, 8
	v_cmp_gt_f64_e32 vcc, s[22:23], v[2:3]
	s_mov_b32 s22, 0xcc7470a9
	s_mov_b32 s23, 0x3eed413f
	v_fma_f64 v[6:7], v[0:1], v[4:5], -v[6:7]
	v_cndmask_b32_e32 v8, 0, v8, vcc
	v_ldexp_f64 v[2:3], v[2:3], v8
	v_add_f64 v[6:7], v[6:7], s[22:23]
	s_mov_b32 s22, 0xe7889f42
	s_mov_b32 s23, 0xbf20d797
	v_rsq_f64_e32 v[8:9], v[2:3]
	v_fma_f64 v[4:5], v[0:1], v[6:7], -v[4:5]
	v_add_f64 v[4:5], v[4:5], s[22:23]
	s_mov_b32 s22, 0xfca79342
	s_mov_b32 s23, 0x3f59b891
	v_mul_f64 v[10:11], v[2:3], v[8:9]
	v_mul_f64 v[8:9], v[8:9], 0.5
	v_fma_f64 v[6:7], v[0:1], v[4:5], -v[6:7]
	v_fma_f64 v[12:13], -v[8:9], v[10:11], 0.5
	v_add_f64 v[6:7], v[6:7], s[22:23]
	s_mov_b32 s22, 0x2d4ff71e
	s_mov_b32 s23, 0xbfa019f7
	v_fma_f64 v[10:11], v[10:11], v[12:13], v[10:11]
	v_fma_f64 v[8:9], v[8:9], v[12:13], v[8:9]
	v_fma_f64 v[4:5], v[0:1], v[6:7], -v[4:5]
	v_fma_f64 v[12:13], -v[10:11], v[10:11], v[2:3]
	v_add_f64 v[4:5], v[4:5], s[22:23]
	s_mov_b32 s22, 0x9f4e6907
	s_mov_b32 s23, 0x400385bd
	v_fma_f64 v[10:11], v[12:13], v[8:9], v[10:11]
	v_fma_f64 v[0:1], v[0:1], v[4:5], -v[6:7]
	v_fma_f64 v[4:5], -v[10:11], v[10:11], v[2:3]
	v_add_f64 v[0:1], v[0:1], s[22:23]
	v_fma_f64 v[4:5], v[4:5], v[8:9], v[10:11]
	v_add_f64 v[0:1], v[0:1], -v[6:7]
	v_mov_b32_e32 v6, 0xffffff80
	v_mov_b32_e32 v7, 0x260
	v_cndmask_b32_e32 v6, 0, v6, vcc
	v_cmp_class_f64_e32 vcc, v[2:3], v7
	v_ldexp_f64 v[4:5], v[4:5], v6
	v_mul_f64 v[0:1], v[0:1], 0.5
	v_cndmask_b32_e32 v3, v5, v3, vcc
	v_cndmask_b32_e32 v2, v4, v2, vcc
	v_div_scale_f64 v[4:5], s[22:23], v[2:3], v[2:3], v[0:1]
	v_div_scale_f64 v[10:11], vcc, v[0:1], v[2:3], v[0:1]
	v_rcp_f64_e32 v[6:7], v[4:5]
	v_fma_f64 v[8:9], -v[4:5], v[6:7], 1.0
	v_fma_f64 v[6:7], v[6:7], v[8:9], v[6:7]
	v_fma_f64 v[8:9], -v[4:5], v[6:7], 1.0
	v_fma_f64 v[6:7], v[6:7], v[8:9], v[6:7]
	v_mul_f64 v[8:9], v[10:11], v[6:7]
	v_fma_f64 v[4:5], -v[4:5], v[8:9], v[10:11]
	v_div_fmas_f64 v[4:5], v[4:5], v[6:7], v[8:9]
	v_div_fixup_f64 v[0:1], v[4:5], v[2:3], v[0:1]
.LBB8_17:
	s_or_b64 exec, exec, s[0:1]
.LBB8_18:
	s_or_b64 exec, exec, s[18:19]
.LBB8_19:
	s_or_b64 exec, exec, s[6:7]
	v_mul_lo_u32 v2, v26, s2
	v_mov_b32_e32 v3, s9
	s_and_b32 s24, s33, 0xff
	s_cmp_lt_i32 s24, 11
	v_ashrrev_i32_e32 v5, 31, v2
	v_add_co_u32_e32 v4, vcc, s8, v2
	v_addc_co_u32_e32 v5, vcc, v3, v5, vcc
	s_cbranch_scc1 .LBB8_27
; %bb.20:
	s_and_b32 s25, 0xffff, s24
	s_cmp_gt_i32 s25, 25
	s_cbranch_scc0 .LBB8_31
; %bb.21:
	s_cmp_gt_i32 s25, 28
	s_cbranch_scc0 .LBB8_33
; %bb.22:
	;; [unrolled: 3-line block ×4, first 2 shown]
	s_mov_b64 s[18:19], 0
	s_mov_b64 s[0:1], -1
	s_cmp_eq_u32 s25, 46
	s_mov_b64 s[6:7], 0
	s_cbranch_scc0 .LBB8_42
; %bb.25:
	v_cvt_f32_f64_e32 v2, v[0:1]
	s_movk_i32 s0, 0x7fff
	v_mov_b32_e32 v3, 0x7fc0
	s_mov_b64 s[6:7], -1
	v_bfe_u32 v6, v2, 16, 1
	v_cmp_o_f32_e32 vcc, v2, v2
	v_add3_u32 v2, v2, v6, s0
	v_cndmask_b32_sdwa v2, v3, v2, vcc dst_sel:DWORD dst_unused:UNUSED_PAD src0_sel:DWORD src1_sel:WORD_1
	global_store_dword v[4:5], v2, off
	s_mov_b64 s[0:1], 0
	s_branch .LBB8_42
.LBB8_26:
	s_mov_b64 s[0:1], 0
                                        ; implicit-def: $vgpr2_vgpr3
	s_cbranch_execnz .LBB8_178
	s_branch .LBB8_210
.LBB8_27:
	s_mov_b64 s[0:1], 0
	s_mov_b64 s[6:7], 0
	s_cbranch_execnz .LBB8_111
.LBB8_28:
	s_andn2_b64 vcc, exec, s[6:7]
	s_cbranch_vccnz .LBB8_149
.LBB8_29:
	v_add_u32_e32 v26, 0x80, v26
	s_mov_b64 s[18:19], -1
	s_branch .LBB8_259
.LBB8_30:
	s_mov_b64 s[6:7], -1
	s_mov_b64 s[0:1], 0
                                        ; implicit-def: $vgpr2_vgpr3
	s_branch .LBB8_157
.LBB8_31:
	s_mov_b64 s[18:19], -1
	s_mov_b64 s[0:1], 0
	s_mov_b64 s[6:7], 0
	s_branch .LBB8_69
.LBB8_32:
	s_mov_b64 s[6:7], -1
	s_mov_b64 s[0:1], 0
                                        ; implicit-def: $vgpr2_vgpr3
	s_branch .LBB8_152
.LBB8_33:
	s_mov_b64 s[18:19], -1
	s_mov_b64 s[0:1], 0
	s_mov_b64 s[6:7], 0
	s_branch .LBB8_52
.LBB8_34:
	s_mov_b64 s[6:7], -1
	s_branch .LBB8_37
.LBB8_35:
	s_mov_b64 s[18:19], -1
	s_mov_b64 s[0:1], 0
	s_mov_b64 s[6:7], 0
	s_branch .LBB8_48
.LBB8_36:
	s_mov_b64 s[14:15], -1
.LBB8_37:
	s_mov_b64 s[0:1], 0
                                        ; implicit-def: $vgpr2_vgpr3
.LBB8_38:
	s_and_b64 vcc, exec, s[6:7]
	s_cbranch_vccz .LBB8_151
; %bb.39:
	s_cmp_eq_u32 s22, 44
	s_cbranch_scc0 .LBB8_150
; %bb.40:
	global_load_ubyte v4, v[0:1], off
	s_movk_i32 s6, 0xff
	v_bfrev_b32_e32 v5, 4
	v_mov_b32_e32 v6, 0x7ff80000
	v_bfrev_b32_e32 v7, 28
	s_mov_b64 s[0:1], -1
	s_mov_b64 s[14:15], 0
	s_waitcnt vmcnt(0)
	v_lshlrev_b32_e32 v2, 23, v4
	v_cvt_f64_f32_e32 v[2:3], v2
	v_cmp_ne_u32_e32 vcc, s6, v4
	v_cndmask_b32_e32 v2, v5, v2, vcc
	v_cndmask_b32_e32 v3, v6, v3, vcc
	v_cmp_ne_u32_e32 vcc, 0, v4
	v_cndmask_b32_e32 v3, v7, v3, vcc
	v_cndmask_b32_e32 v2, 0, v2, vcc
	s_branch .LBB8_151
.LBB8_41:
	s_mov_b64 s[18:19], -1
	s_mov_b64 s[0:1], 0
	s_mov_b64 s[6:7], 0
.LBB8_42:
	s_and_b64 vcc, exec, s[18:19]
	s_cbranch_vccz .LBB8_47
; %bb.43:
	s_cmp_eq_u32 s25, 44
	s_mov_b64 s[0:1], -1
	s_cbranch_scc0 .LBB8_47
; %bb.44:
	v_cvt_f32_f64_e32 v2, v[0:1]
	s_movk_i32 s0, 0xff
	v_mov_b32_e32 v6, 0xff
	v_bfe_u32 v3, v2, 23, 8
	v_cmp_ne_u32_e32 vcc, s0, v3
	s_and_saveexec_b64 s[6:7], vcc
; %bb.45:
	s_mov_b32 s0, 0x3fffff
	v_lshrrev_b32_e32 v6, 23, v2
	v_and_b32_e32 v7, 0x400000, v2
	v_and_or_b32 v2, v2, s0, v3
	v_cmp_ne_u32_e32 vcc, 0, v7
	v_cmp_ne_u32_e64 s[0:1], 0, v2
	s_and_b64 s[0:1], vcc, s[0:1]
	v_cndmask_b32_e64 v2, 0, 1, s[0:1]
	v_add_u32_e32 v6, v6, v2
; %bb.46:
	s_or_b64 exec, exec, s[6:7]
	s_mov_b64 s[6:7], -1
	s_mov_b64 s[0:1], 0
	global_store_byte v[4:5], v6, off
.LBB8_47:
	s_mov_b64 s[18:19], 0
.LBB8_48:
	s_and_b64 vcc, exec, s[18:19]
	s_cbranch_vccz .LBB8_51
; %bb.49:
	s_cmp_eq_u32 s25, 29
	s_mov_b64 s[0:1], -1
	s_cbranch_scc0 .LBB8_51
; %bb.50:
	v_trunc_f64_e32 v[2:3], v[0:1]
	s_movk_i32 s0, 0xffe0
	s_mov_b64 s[6:7], -1
	s_mov_b64 s[18:19], 0
	v_ldexp_f64 v[6:7], v[2:3], s0
	s_mov_b32 s0, 0
	s_mov_b32 s1, 0xc1f00000
	v_floor_f64_e32 v[6:7], v[6:7]
	v_fma_f64 v[2:3], v[6:7], s[0:1], v[2:3]
	v_cvt_u32_f64_e32 v7, v[6:7]
	s_mov_b64 s[0:1], 0
	v_cvt_u32_f64_e32 v6, v[2:3]
	global_store_dwordx2 v[4:5], v[6:7], off
	s_branch .LBB8_52
.LBB8_51:
	s_mov_b64 s[18:19], 0
.LBB8_52:
	s_and_b64 vcc, exec, s[18:19]
	s_cbranch_vccz .LBB8_68
; %bb.53:
	s_cmp_lt_i32 s25, 27
	s_mov_b64 s[6:7], -1
	s_cbranch_scc1 .LBB8_59
; %bb.54:
	v_cvt_u32_f64_e32 v2, v[0:1]
	s_cmp_gt_i32 s25, 27
	s_cbranch_scc0 .LBB8_56
; %bb.55:
	s_mov_b64 s[6:7], 0
	global_store_dword v[4:5], v2, off
.LBB8_56:
	s_andn2_b64 vcc, exec, s[6:7]
	s_cbranch_vccnz .LBB8_58
; %bb.57:
	global_store_short v[4:5], v2, off
.LBB8_58:
	s_mov_b64 s[6:7], 0
.LBB8_59:
	s_andn2_b64 vcc, exec, s[6:7]
	s_cbranch_vccnz .LBB8_67
; %bb.60:
	v_cvt_f32_f64_e32 v2, v[0:1]
	s_mov_b32 s6, 0x43800000
	v_mov_b32_e32 v6, 0x80
	v_and_b32_e32 v3, 0x7fffffff, v2
	v_cmp_gt_u32_e32 vcc, s6, v3
	s_and_saveexec_b64 s[6:7], vcc
	s_cbranch_execz .LBB8_66
; %bb.61:
	s_mov_b32 s18, 0x3bffffff
	v_cmp_lt_u32_e32 vcc, s18, v3
	s_mov_b64 s[18:19], 0
                                        ; implicit-def: $vgpr3
	s_and_saveexec_b64 s[22:23], vcc
	s_xor_b64 s[22:23], exec, s[22:23]
	s_cbranch_execz .LBB8_295
; %bb.62:
	v_bfe_u32 v3, v2, 20, 1
	s_mov_b32 s26, 0x487ffff
	v_add3_u32 v3, v2, v3, s26
	s_mov_b64 s[18:19], exec
	v_lshrrev_b32_e32 v3, 20, v3
	s_andn2_saveexec_b64 s[22:23], s[22:23]
	s_cbranch_execnz .LBB8_296
.LBB8_63:
	s_or_b64 exec, exec, s[22:23]
	v_mov_b32_e32 v6, 0
	s_and_saveexec_b64 s[22:23], s[18:19]
.LBB8_64:
	v_lshrrev_b32_e32 v2, 24, v2
	s_movk_i32 s18, 0x80
	v_and_or_b32 v6, v2, s18, v3
.LBB8_65:
	s_or_b64 exec, exec, s[22:23]
.LBB8_66:
	s_or_b64 exec, exec, s[6:7]
	global_store_byte v[4:5], v6, off
.LBB8_67:
	s_mov_b64 s[6:7], -1
.LBB8_68:
	s_mov_b64 s[18:19], 0
.LBB8_69:
	s_and_b64 vcc, exec, s[18:19]
	s_cbranch_vccz .LBB8_110
; %bb.70:
	s_cmp_gt_i32 s25, 22
	s_mov_b64 s[18:19], -1
	s_cbranch_scc0 .LBB8_102
; %bb.71:
	s_cmp_lt_i32 s25, 24
	s_mov_b64 s[6:7], -1
	s_cbranch_scc1 .LBB8_91
; %bb.72:
	s_cmp_gt_i32 s25, 24
	s_cbranch_scc0 .LBB8_80
; %bb.73:
	v_cvt_f32_f64_e32 v2, v[0:1]
	s_mov_b32 s6, 0x47800000
	v_mov_b32_e32 v6, 0x80
	v_and_b32_e32 v3, 0x7fffffff, v2
	v_cmp_gt_u32_e32 vcc, s6, v3
	s_and_saveexec_b64 s[6:7], vcc
	s_cbranch_execz .LBB8_79
; %bb.74:
	s_mov_b32 s18, 0x37ffffff
	v_cmp_lt_u32_e32 vcc, s18, v3
	s_mov_b64 s[18:19], 0
                                        ; implicit-def: $vgpr3
	s_and_saveexec_b64 s[22:23], vcc
	s_xor_b64 s[22:23], exec, s[22:23]
	s_cbranch_execz .LBB8_299
; %bb.75:
	v_bfe_u32 v3, v2, 21, 1
	s_mov_b32 s26, 0x88fffff
	v_add3_u32 v3, v2, v3, s26
	s_mov_b64 s[18:19], exec
	v_lshrrev_b32_e32 v3, 21, v3
	s_andn2_saveexec_b64 s[22:23], s[22:23]
	s_cbranch_execnz .LBB8_300
.LBB8_76:
	s_or_b64 exec, exec, s[22:23]
	v_mov_b32_e32 v6, 0
	s_and_saveexec_b64 s[22:23], s[18:19]
.LBB8_77:
	v_lshrrev_b32_e32 v2, 24, v2
	s_movk_i32 s18, 0x80
	v_and_or_b32 v6, v2, s18, v3
.LBB8_78:
	s_or_b64 exec, exec, s[22:23]
.LBB8_79:
	s_or_b64 exec, exec, s[6:7]
	s_mov_b64 s[6:7], 0
	global_store_byte v[4:5], v6, off
.LBB8_80:
	s_and_b64 vcc, exec, s[6:7]
	s_cbranch_vccz .LBB8_90
; %bb.81:
	v_cvt_f32_f64_e32 v2, v[0:1]
	s_mov_b32 s6, 0x43f00000
                                        ; implicit-def: $vgpr3
	v_and_b32_e32 v6, 0x7fffffff, v2
	v_cmp_gt_u32_e32 vcc, s6, v6
	s_and_saveexec_b64 s[6:7], vcc
	s_xor_b64 s[6:7], exec, s[6:7]
	s_cbranch_execz .LBB8_87
; %bb.82:
	s_mov_b32 s18, 0x3c7fffff
	v_cmp_lt_u32_e32 vcc, s18, v6
                                        ; implicit-def: $vgpr3
	s_and_saveexec_b64 s[18:19], vcc
	s_xor_b64 s[18:19], exec, s[18:19]
; %bb.83:
	v_bfe_u32 v3, v2, 20, 1
	s_mov_b32 s22, 0x407ffff
	v_add3_u32 v3, v2, v3, s22
	v_lshrrev_b32_e32 v6, 20, v3
	v_and_b32_e32 v3, 0xff00000, v3
	s_mov_b32 s22, 0x7f00000
	v_mov_b32_e32 v7, 0x7e
	v_cmp_ne_u32_e32 vcc, s22, v3
	v_cndmask_b32_e32 v3, v7, v6, vcc
; %bb.84:
	s_andn2_saveexec_b64 s[18:19], s[18:19]
; %bb.85:
	s_mov_b32 s22, 0x46800000
	v_add_f32_e64 v3, |v2|, s22
; %bb.86:
	s_or_b64 exec, exec, s[18:19]
                                        ; implicit-def: $vgpr6
.LBB8_87:
	s_andn2_saveexec_b64 s[6:7], s[6:7]
; %bb.88:
	s_mov_b32 s18, 0x7f800000
	v_mov_b32_e32 v3, 0x7e
	v_mov_b32_e32 v7, 0x7f
	v_cmp_lt_u32_e32 vcc, s18, v6
	v_cndmask_b32_e32 v3, v3, v7, vcc
; %bb.89:
	s_or_b64 exec, exec, s[6:7]
	v_lshrrev_b32_e32 v2, 24, v2
	s_movk_i32 s6, 0x80
	v_and_or_b32 v2, v2, s6, v3
	global_store_byte v[4:5], v2, off
.LBB8_90:
	s_mov_b64 s[6:7], 0
.LBB8_91:
	s_andn2_b64 vcc, exec, s[6:7]
	s_cbranch_vccnz .LBB8_101
; %bb.92:
	v_cvt_f32_f64_e32 v2, v[0:1]
	s_mov_b32 s6, 0x47800000
                                        ; implicit-def: $vgpr3
	v_and_b32_e32 v6, 0x7fffffff, v2
	v_cmp_gt_u32_e32 vcc, s6, v6
	s_and_saveexec_b64 s[6:7], vcc
	s_xor_b64 s[6:7], exec, s[6:7]
	s_cbranch_execz .LBB8_98
; %bb.93:
	s_mov_b32 s18, 0x387fffff
	v_cmp_lt_u32_e32 vcc, s18, v6
                                        ; implicit-def: $vgpr3
	s_and_saveexec_b64 s[18:19], vcc
	s_xor_b64 s[18:19], exec, s[18:19]
; %bb.94:
	v_bfe_u32 v3, v2, 21, 1
	s_mov_b32 s22, 0x80fffff
	v_add3_u32 v3, v2, v3, s22
	v_lshrrev_b32_e32 v3, 21, v3
; %bb.95:
	s_andn2_saveexec_b64 s[18:19], s[18:19]
; %bb.96:
	s_mov_b32 s22, 0x43000000
	v_add_f32_e64 v3, |v2|, s22
; %bb.97:
	s_or_b64 exec, exec, s[18:19]
                                        ; implicit-def: $vgpr6
.LBB8_98:
	s_andn2_saveexec_b64 s[6:7], s[6:7]
; %bb.99:
	s_mov_b32 s18, 0x7f800000
	v_mov_b32_e32 v3, 0x7c
	v_mov_b32_e32 v7, 0x7f
	v_cmp_lt_u32_e32 vcc, s18, v6
	v_cndmask_b32_e32 v3, v3, v7, vcc
; %bb.100:
	s_or_b64 exec, exec, s[6:7]
	v_lshrrev_b32_e32 v2, 24, v2
	s_movk_i32 s6, 0x80
	v_and_or_b32 v2, v2, s6, v3
	global_store_byte v[4:5], v2, off
.LBB8_101:
	s_mov_b64 s[18:19], 0
	s_mov_b64 s[6:7], -1
.LBB8_102:
	s_andn2_b64 vcc, exec, s[18:19]
	s_cbranch_vccnz .LBB8_110
; %bb.103:
	s_cmp_gt_i32 s25, 14
	s_mov_b64 s[18:19], -1
	s_cbranch_scc0 .LBB8_107
; %bb.104:
	s_cmp_eq_u32 s25, 15
	s_mov_b64 s[0:1], -1
	s_cbranch_scc0 .LBB8_106
; %bb.105:
	v_cvt_f32_f64_e32 v2, v[0:1]
	s_movk_i32 s0, 0x7fff
	v_mov_b32_e32 v3, 0x7fc0
	s_mov_b64 s[6:7], -1
	v_bfe_u32 v6, v2, 16, 1
	v_cmp_o_f32_e32 vcc, v2, v2
	v_add3_u32 v2, v2, v6, s0
	v_cndmask_b32_sdwa v2, v3, v2, vcc dst_sel:DWORD dst_unused:UNUSED_PAD src0_sel:DWORD src1_sel:WORD_1
	global_store_short v[4:5], v2, off
	s_mov_b64 s[0:1], 0
.LBB8_106:
	s_mov_b64 s[18:19], 0
.LBB8_107:
	s_and_b64 vcc, exec, s[18:19]
	s_cbranch_vccz .LBB8_110
; %bb.108:
	s_cmp_eq_u32 s25, 11
	s_mov_b64 s[0:1], -1
	s_cbranch_scc0 .LBB8_110
; %bb.109:
	v_cmp_neq_f64_e32 vcc, 0, v[0:1]
	s_mov_b64 s[0:1], 0
	s_mov_b64 s[6:7], -1
	v_cndmask_b32_e64 v2, 0, 1, vcc
	global_store_byte v[4:5], v2, off
.LBB8_110:
	s_branch .LBB8_28
.LBB8_111:
	s_and_b32 s18, 0xffff, s24
	s_cmp_lt_i32 s18, 5
	s_mov_b64 s[6:7], -1
	s_cbranch_scc1 .LBB8_132
; %bb.112:
	s_cmp_lt_i32 s18, 8
	s_cbranch_scc1 .LBB8_122
; %bb.113:
	s_cmp_lt_i32 s18, 9
	s_cbranch_scc1 .LBB8_119
; %bb.114:
	s_cmp_gt_i32 s18, 9
	s_cbranch_scc0 .LBB8_116
; %bb.115:
	v_mov_b32_e32 v2, 0
	v_mov_b32_e32 v3, v2
	global_store_dwordx4 v[4:5], v[0:3], off
	s_mov_b64 s[6:7], 0
.LBB8_116:
	s_andn2_b64 vcc, exec, s[6:7]
	s_cbranch_vccnz .LBB8_118
; %bb.117:
	v_cvt_f32_f64_e32 v2, v[0:1]
	v_mov_b32_e32 v3, 0
	global_store_dwordx2 v[4:5], v[2:3], off
.LBB8_118:
	s_mov_b64 s[6:7], 0
.LBB8_119:
	s_andn2_b64 vcc, exec, s[6:7]
	s_cbranch_vccnz .LBB8_121
; %bb.120:
	s_movk_i32 s6, 0x1ff
	v_and_or_b32 v2, v1, s6, v0
	v_cmp_ne_u32_e32 vcc, 0, v2
	v_cndmask_b32_e64 v2, 0, 1, vcc
	v_lshrrev_b32_e32 v3, 8, v1
	s_movk_i32 s6, 0xffe
	v_bfe_u32 v6, v1, 20, 11
	v_and_or_b32 v2, v3, s6, v2
	v_sub_u32_e32 v7, 0x3f1, v6
	v_or_b32_e32 v3, 0x1000, v2
	v_med3_i32 v7, v7, 0, 13
	v_lshrrev_b32_e32 v8, v7, v3
	v_lshlrev_b32_e32 v7, v7, v8
	v_cmp_ne_u32_e32 vcc, v7, v3
	v_cndmask_b32_e64 v3, 0, 1, vcc
	v_add_u32_e32 v6, 0xfffffc10, v6
	v_or_b32_e32 v3, v8, v3
	v_lshl_or_b32 v7, v6, 12, v2
	v_cmp_gt_i32_e32 vcc, 1, v6
	v_cndmask_b32_e32 v3, v7, v3, vcc
	v_and_b32_e32 v7, 7, v3
	v_cmp_lt_i32_e32 vcc, 5, v7
	v_cndmask_b32_e64 v8, 0, 1, vcc
	v_cmp_eq_u32_e32 vcc, 3, v7
	v_cndmask_b32_e64 v7, 0, 1, vcc
	v_or_b32_e32 v7, v7, v8
	v_lshrrev_b32_e32 v3, 2, v3
	v_add_u32_e32 v3, v3, v7
	v_mov_b32_e32 v7, 0x7c00
	v_cmp_gt_i32_e32 vcc, 31, v6
	v_cndmask_b32_e32 v3, v7, v3, vcc
	v_mov_b32_e32 v8, 0x7e00
	v_cmp_ne_u32_e32 vcc, 0, v2
	s_movk_i32 s6, 0x40f
	v_cndmask_b32_e32 v2, v7, v8, vcc
	v_cmp_eq_u32_e32 vcc, s6, v6
	v_cndmask_b32_e32 v2, v3, v2, vcc
	v_lshrrev_b32_e32 v3, 16, v1
	s_mov_b32 s6, 0x8000
	v_and_or_b32 v2, v3, s6, v2
	v_and_b32_e32 v2, 0xffff, v2
	global_store_dword v[4:5], v2, off
.LBB8_121:
	s_mov_b64 s[6:7], 0
.LBB8_122:
	s_andn2_b64 vcc, exec, s[6:7]
	s_cbranch_vccnz .LBB8_131
; %bb.123:
	s_cmp_lt_i32 s18, 6
	s_mov_b64 s[6:7], -1
	s_cbranch_scc1 .LBB8_129
; %bb.124:
	s_cmp_gt_i32 s18, 6
	s_cbranch_scc0 .LBB8_126
; %bb.125:
	global_store_dwordx2 v[4:5], v[0:1], off
	s_mov_b64 s[6:7], 0
.LBB8_126:
	s_andn2_b64 vcc, exec, s[6:7]
	s_cbranch_vccnz .LBB8_128
; %bb.127:
	v_cvt_f32_f64_e32 v2, v[0:1]
	global_store_dword v[4:5], v2, off
.LBB8_128:
	s_mov_b64 s[6:7], 0
.LBB8_129:
	s_andn2_b64 vcc, exec, s[6:7]
	s_cbranch_vccnz .LBB8_131
; %bb.130:
	s_movk_i32 s6, 0x1ff
	v_and_or_b32 v2, v1, s6, v0
	v_cmp_ne_u32_e32 vcc, 0, v2
	v_cndmask_b32_e64 v2, 0, 1, vcc
	v_lshrrev_b32_e32 v3, 8, v1
	s_movk_i32 s6, 0xffe
	v_bfe_u32 v6, v1, 20, 11
	v_and_or_b32 v2, v3, s6, v2
	v_sub_u32_e32 v7, 0x3f1, v6
	v_or_b32_e32 v3, 0x1000, v2
	v_med3_i32 v7, v7, 0, 13
	v_lshrrev_b32_e32 v8, v7, v3
	v_lshlrev_b32_e32 v7, v7, v8
	v_cmp_ne_u32_e32 vcc, v7, v3
	v_cndmask_b32_e64 v3, 0, 1, vcc
	v_add_u32_e32 v6, 0xfffffc10, v6
	v_or_b32_e32 v3, v8, v3
	v_lshl_or_b32 v7, v6, 12, v2
	v_cmp_gt_i32_e32 vcc, 1, v6
	v_cndmask_b32_e32 v3, v7, v3, vcc
	v_and_b32_e32 v7, 7, v3
	v_cmp_lt_i32_e32 vcc, 5, v7
	v_cndmask_b32_e64 v8, 0, 1, vcc
	v_cmp_eq_u32_e32 vcc, 3, v7
	v_cndmask_b32_e64 v7, 0, 1, vcc
	v_or_b32_e32 v7, v7, v8
	v_lshrrev_b32_e32 v3, 2, v3
	v_add_u32_e32 v3, v3, v7
	v_mov_b32_e32 v7, 0x7c00
	v_cmp_gt_i32_e32 vcc, 31, v6
	v_cndmask_b32_e32 v3, v7, v3, vcc
	v_mov_b32_e32 v8, 0x7e00
	v_cmp_ne_u32_e32 vcc, 0, v2
	s_movk_i32 s6, 0x40f
	v_cndmask_b32_e32 v2, v7, v8, vcc
	v_cmp_eq_u32_e32 vcc, s6, v6
	v_cndmask_b32_e32 v2, v3, v2, vcc
	v_lshrrev_b32_e32 v3, 16, v1
	s_mov_b32 s6, 0x8000
	v_and_or_b32 v2, v3, s6, v2
	global_store_short v[4:5], v2, off
.LBB8_131:
	s_mov_b64 s[6:7], 0
.LBB8_132:
	s_andn2_b64 vcc, exec, s[6:7]
	s_cbranch_vccnz .LBB8_148
; %bb.133:
	s_cmp_lt_i32 s18, 2
	s_mov_b64 s[6:7], -1
	s_cbranch_scc1 .LBB8_143
; %bb.134:
	s_cmp_lt_i32 s18, 3
	s_cbranch_scc1 .LBB8_140
; %bb.135:
	s_cmp_gt_i32 s18, 3
	s_cbranch_scc0 .LBB8_137
; %bb.136:
	v_trunc_f64_e32 v[2:3], v[0:1]
	s_movk_i32 s6, 0xffe0
	v_ldexp_f64 v[6:7], v[2:3], s6
	s_mov_b32 s6, 0
	s_mov_b32 s7, 0xc1f00000
	v_floor_f64_e32 v[6:7], v[6:7]
	v_fma_f64 v[2:3], v[6:7], s[6:7], v[2:3]
	v_cvt_i32_f64_e32 v7, v[6:7]
	s_mov_b64 s[6:7], 0
	v_cvt_u32_f64_e32 v6, v[2:3]
	global_store_dwordx2 v[4:5], v[6:7], off
.LBB8_137:
	s_andn2_b64 vcc, exec, s[6:7]
	s_cbranch_vccnz .LBB8_139
; %bb.138:
	v_cvt_i32_f64_e32 v2, v[0:1]
	global_store_dword v[4:5], v2, off
.LBB8_139:
	s_mov_b64 s[6:7], 0
.LBB8_140:
	s_andn2_b64 vcc, exec, s[6:7]
	s_cbranch_vccnz .LBB8_142
; %bb.141:
	v_cvt_i32_f64_e32 v2, v[0:1]
	global_store_short v[4:5], v2, off
.LBB8_142:
	s_mov_b64 s[6:7], 0
.LBB8_143:
	s_andn2_b64 vcc, exec, s[6:7]
	s_cbranch_vccnz .LBB8_148
; %bb.144:
	s_cmp_gt_i32 s18, 0
	s_mov_b64 s[6:7], -1
	s_cbranch_scc0 .LBB8_146
; %bb.145:
	v_cvt_i32_f64_e32 v2, v[0:1]
	s_mov_b64 s[6:7], 0
	global_store_byte v[4:5], v2, off
.LBB8_146:
	s_andn2_b64 vcc, exec, s[6:7]
	s_cbranch_vccnz .LBB8_148
; %bb.147:
	v_trunc_f64_e32 v[0:1], v[0:1]
	s_movk_i32 s6, 0xffe0
	v_ldexp_f64 v[2:3], v[0:1], s6
	s_mov_b32 s6, 0
	s_mov_b32 s7, 0xc1f00000
	v_floor_f64_e32 v[2:3], v[2:3]
	v_fma_f64 v[0:1], v[2:3], s[6:7], v[0:1]
	v_cvt_u32_f64_e32 v0, v[0:1]
	global_store_byte v[4:5], v0, off
.LBB8_148:
	s_branch .LBB8_29
.LBB8_149:
	s_mov_b64 s[18:19], 0
                                        ; implicit-def: $vgpr26
	s_branch .LBB8_259
.LBB8_150:
	s_mov_b64 s[14:15], -1
                                        ; implicit-def: $vgpr2_vgpr3
.LBB8_151:
	s_mov_b64 s[6:7], 0
.LBB8_152:
	s_and_b64 vcc, exec, s[6:7]
	s_cbranch_vccz .LBB8_156
; %bb.153:
	s_cmp_eq_u32 s22, 29
	s_cbranch_scc0 .LBB8_155
; %bb.154:
	global_load_dwordx2 v[2:3], v[0:1], off
	s_mov_b64 s[0:1], -1
	s_mov_b64 s[14:15], 0
	s_mov_b64 s[6:7], 0
	s_waitcnt vmcnt(0)
	v_cvt_f64_u32_e32 v[3:4], v3
	v_cvt_f64_u32_e32 v[5:6], v2
	v_ldexp_f64 v[3:4], v[3:4], 32
	v_add_f64 v[2:3], v[3:4], v[5:6]
	s_branch .LBB8_157
.LBB8_155:
	s_mov_b64 s[14:15], -1
                                        ; implicit-def: $vgpr2_vgpr3
.LBB8_156:
	s_mov_b64 s[6:7], 0
.LBB8_157:
	s_and_b64 vcc, exec, s[6:7]
	s_cbranch_vccz .LBB8_177
; %bb.158:
	s_cmp_lt_i32 s22, 27
	s_cbranch_scc1 .LBB8_161
; %bb.159:
	s_cmp_gt_i32 s22, 27
	s_cbranch_scc0 .LBB8_162
; %bb.160:
	global_load_dword v2, v[0:1], off
	s_mov_b64 s[0:1], 0
	s_waitcnt vmcnt(0)
	v_cvt_f64_u32_e32 v[2:3], v2
	s_branch .LBB8_163
.LBB8_161:
	s_mov_b64 s[0:1], -1
                                        ; implicit-def: $vgpr2_vgpr3
	s_branch .LBB8_166
.LBB8_162:
	s_mov_b64 s[0:1], -1
                                        ; implicit-def: $vgpr2_vgpr3
.LBB8_163:
	s_andn2_b64 vcc, exec, s[0:1]
	s_cbranch_vccnz .LBB8_165
; %bb.164:
	global_load_ushort v2, v[0:1], off
	s_waitcnt vmcnt(0)
	v_cvt_f64_u32_e32 v[2:3], v2
.LBB8_165:
	s_mov_b64 s[0:1], 0
.LBB8_166:
	s_andn2_b64 vcc, exec, s[0:1]
	s_cbranch_vccnz .LBB8_176
; %bb.167:
	global_load_ubyte v4, v[0:1], off
	s_movk_i32 s0, 0x7f
	s_waitcnt vmcnt(0)
	v_cmp_lt_i16_e32 vcc, s0, v4
	s_mov_b64 s[0:1], 0
	s_and_saveexec_b64 s[6:7], vcc
	s_xor_b64 s[6:7], exec, s[6:7]
	s_cbranch_execz .LBB8_171
; %bb.168:
	s_movk_i32 s0, 0x80
	v_cmp_eq_u16_e32 vcc, s0, v4
	s_mov_b64 s[0:1], -1
	s_and_saveexec_b64 s[18:19], vcc
; %bb.169:
	s_xor_b64 s[0:1], exec, -1
; %bb.170:
	s_or_b64 exec, exec, s[18:19]
	s_and_b64 s[0:1], s[0:1], exec
.LBB8_171:
	s_or_saveexec_b64 s[6:7], s[6:7]
	v_bfrev_b32_e32 v2, 4
	v_mov_b32_e32 v3, 0x7ff80000
	s_xor_b64 exec, exec, s[6:7]
; %bb.172:
	v_cmp_ne_u16_e32 vcc, 0, v4
	v_mov_b32_e32 v2, 0
	s_andn2_b64 s[0:1], s[0:1], exec
	s_and_b64 s[18:19], vcc, exec
	v_mov_b32_e32 v3, 0
	s_or_b64 s[0:1], s[0:1], s[18:19]
; %bb.173:
	s_or_b64 exec, exec, s[6:7]
	s_and_saveexec_b64 s[6:7], s[0:1]
	s_cbranch_execz .LBB8_175
; %bb.174:
	v_and_b32_e32 v3, 0xffff, v4
	v_lshlrev_b32_e32 v2, 24, v4
	v_and_b32_e32 v4, 7, v3
	v_ffbh_u32_e32 v6, v4
	v_min_u32_e32 v6, 32, v6
	v_subrev_u32_e32 v7, 28, v6
	v_bfe_u32 v5, v3, 3, 4
	v_lshlrev_b32_e32 v3, v7, v3
	v_sub_u32_e32 v6, 29, v6
	v_and_b32_e32 v3, 7, v3
	v_cmp_eq_u32_e32 vcc, 0, v5
	v_cndmask_b32_e32 v5, v5, v6, vcc
	v_cndmask_b32_e32 v3, v4, v3, vcc
	v_mov_b32_e32 v4, 0x3b800000
	v_lshlrev_b32_e32 v3, 20, v3
	v_and_b32_e32 v2, 0x80000000, v2
	v_lshl_add_u32 v4, v5, 23, v4
	v_or3_b32 v2, v2, v4, v3
	v_cvt_f64_f32_e32 v[2:3], v2
.LBB8_175:
	s_or_b64 exec, exec, s[6:7]
.LBB8_176:
	s_mov_b64 s[0:1], -1
.LBB8_177:
	s_branch .LBB8_210
.LBB8_178:
	s_cmp_gt_i32 s22, 22
	s_cbranch_scc0 .LBB8_190
; %bb.179:
	s_cmp_lt_i32 s22, 24
	s_cbranch_scc1 .LBB8_191
; %bb.180:
	s_cmp_gt_i32 s22, 24
	s_cbranch_scc0 .LBB8_192
; %bb.181:
	global_load_ubyte v4, v[0:1], off
	s_movk_i32 s0, 0x7f
	s_waitcnt vmcnt(0)
	v_cmp_lt_i16_e32 vcc, s0, v4
	s_mov_b64 s[0:1], 0
	s_and_saveexec_b64 s[6:7], vcc
	s_xor_b64 s[6:7], exec, s[6:7]
	s_cbranch_execz .LBB8_185
; %bb.182:
	s_movk_i32 s0, 0x80
	v_cmp_eq_u16_e32 vcc, s0, v4
	s_mov_b64 s[0:1], -1
	s_and_saveexec_b64 s[18:19], vcc
; %bb.183:
	s_xor_b64 s[0:1], exec, -1
; %bb.184:
	s_or_b64 exec, exec, s[18:19]
	s_and_b64 s[0:1], s[0:1], exec
.LBB8_185:
	s_or_saveexec_b64 s[6:7], s[6:7]
	v_bfrev_b32_e32 v2, 4
	v_mov_b32_e32 v3, 0x7ff80000
	s_xor_b64 exec, exec, s[6:7]
; %bb.186:
	v_cmp_ne_u16_e32 vcc, 0, v4
	v_mov_b32_e32 v2, 0
	s_andn2_b64 s[0:1], s[0:1], exec
	s_and_b64 s[18:19], vcc, exec
	v_mov_b32_e32 v3, 0
	s_or_b64 s[0:1], s[0:1], s[18:19]
; %bb.187:
	s_or_b64 exec, exec, s[6:7]
	s_and_saveexec_b64 s[6:7], s[0:1]
	s_cbranch_execz .LBB8_189
; %bb.188:
	v_and_b32_e32 v3, 0xffff, v4
	v_lshlrev_b32_e32 v2, 24, v4
	v_and_b32_e32 v4, 3, v3
	v_ffbh_u32_e32 v6, v4
	v_min_u32_e32 v6, 32, v6
	v_subrev_u32_e32 v7, 29, v6
	v_bfe_u32 v5, v3, 2, 5
	v_lshlrev_b32_e32 v3, v7, v3
	v_sub_u32_e32 v6, 30, v6
	v_and_b32_e32 v3, 3, v3
	v_cmp_eq_u32_e32 vcc, 0, v5
	v_cndmask_b32_e32 v5, v5, v6, vcc
	v_cndmask_b32_e32 v3, v4, v3, vcc
	v_mov_b32_e32 v4, 0x37800000
	v_lshlrev_b32_e32 v3, 21, v3
	v_and_b32_e32 v2, 0x80000000, v2
	v_lshl_add_u32 v4, v5, 23, v4
	v_or3_b32 v2, v2, v4, v3
	v_cvt_f64_f32_e32 v[2:3], v2
.LBB8_189:
	s_or_b64 exec, exec, s[6:7]
	s_mov_b64 s[0:1], 0
	s_branch .LBB8_193
.LBB8_190:
	s_mov_b64 s[6:7], -1
                                        ; implicit-def: $vgpr2_vgpr3
	s_branch .LBB8_199
.LBB8_191:
	s_mov_b64 s[0:1], -1
                                        ; implicit-def: $vgpr2_vgpr3
	s_branch .LBB8_196
.LBB8_192:
	s_mov_b64 s[0:1], -1
                                        ; implicit-def: $vgpr2_vgpr3
.LBB8_193:
	s_and_b64 vcc, exec, s[0:1]
	s_cbranch_vccz .LBB8_195
; %bb.194:
	global_load_ubyte v2, v[0:1], off
	s_mov_b32 s0, 0x7f800000
	s_waitcnt vmcnt(0)
	v_lshlrev_b32_e32 v2, 24, v2
	v_and_b32_e32 v3, 0x7f000000, v2
	v_ffbh_u32_e32 v4, v3
	v_min_u32_e32 v4, 32, v4
	v_sub_u32_e64 v4, v4, 4 clamp
	v_lshlrev_b32_e32 v6, v4, v3
	v_lshlrev_b32_e32 v4, 23, v4
	v_lshrrev_b32_e32 v6, 4, v6
	v_add_u32_e32 v5, 0x1000000, v3
	v_sub_u32_e32 v4, v6, v4
	v_ashrrev_i32_e32 v5, 8, v5
	v_add_u32_e32 v4, 0x3c000000, v4
	v_and_or_b32 v4, v5, s0, v4
	v_cmp_ne_u32_e32 vcc, 0, v3
	v_cndmask_b32_e32 v3, 0, v4, vcc
	s_brev_b32 s0, 1
	v_and_or_b32 v2, v2, s0, v3
	v_cvt_f64_f32_e32 v[2:3], v2
.LBB8_195:
	s_mov_b64 s[0:1], 0
.LBB8_196:
	s_andn2_b64 vcc, exec, s[0:1]
	s_cbranch_vccnz .LBB8_198
; %bb.197:
	global_load_ubyte v2, v[0:1], off
	s_movk_i32 s0, 0x7f00
	s_brev_b32 s1, 16
	s_waitcnt vmcnt(0)
	v_lshlrev_b16_e32 v3, 8, v2
	v_lshlrev_b32_e32 v2, 25, v2
	v_lshrrev_b32_e32 v4, 4, v2
	v_and_or_b32 v5, v3, s0, 0.5
	v_or_b32_e32 v4, 0x70000000, v4
	v_add_f32_e32 v5, -0.5, v5
	v_mul_f32_e32 v4, 0x7800000, v4
	v_cmp_gt_u32_e32 vcc, s1, v2
	v_bfe_i32 v3, v3, 0, 16
	v_cndmask_b32_e32 v2, v4, v5, vcc
	s_brev_b32 s0, 1
	v_and_or_b32 v2, v3, s0, v2
	v_cvt_f64_f32_e32 v[2:3], v2
.LBB8_198:
	s_mov_b64 s[6:7], 0
	s_mov_b64 s[0:1], -1
.LBB8_199:
	s_andn2_b64 vcc, exec, s[6:7]
	s_cbranch_vccnz .LBB8_210
; %bb.200:
	s_cmp_gt_i32 s22, 14
	s_cbranch_scc0 .LBB8_203
; %bb.201:
	s_cmp_eq_u32 s22, 15
	s_cbranch_scc0 .LBB8_204
; %bb.202:
	global_load_ushort v2, v[0:1], off
	s_mov_b64 s[0:1], -1
	s_mov_b64 s[14:15], 0
	s_waitcnt vmcnt(0)
	v_lshlrev_b32_e32 v2, 16, v2
	v_cvt_f64_f32_e32 v[2:3], v2
	s_branch .LBB8_205
.LBB8_203:
	s_mov_b64 s[6:7], -1
                                        ; implicit-def: $vgpr2_vgpr3
	s_branch .LBB8_206
.LBB8_204:
	s_mov_b64 s[14:15], -1
                                        ; implicit-def: $vgpr2_vgpr3
.LBB8_205:
	s_mov_b64 s[6:7], 0
.LBB8_206:
	s_and_b64 vcc, exec, s[6:7]
	s_cbranch_vccz .LBB8_210
; %bb.207:
	s_cmp_eq_u32 s22, 11
	s_cbranch_scc0 .LBB8_209
; %bb.208:
	global_load_ubyte v3, v[0:1], off
	v_mov_b32_e32 v4, 0x3ff00000
	v_mov_b32_e32 v2, 0
	s_mov_b64 s[0:1], -1
	s_mov_b64 s[14:15], 0
	s_waitcnt vmcnt(0)
	v_cmp_ne_u16_e32 vcc, 0, v3
	v_cndmask_b32_e32 v3, 0, v4, vcc
	s_branch .LBB8_210
.LBB8_209:
	s_mov_b64 s[14:15], -1
                                        ; implicit-def: $vgpr2_vgpr3
.LBB8_210:
	s_branch .LBB8_10
.LBB8_211:
	s_cmp_lt_i32 s22, 5
	s_cbranch_scc1 .LBB8_216
; %bb.212:
	s_cmp_lt_i32 s22, 8
	s_cbranch_scc1 .LBB8_217
; %bb.213:
	;; [unrolled: 3-line block ×3, first 2 shown]
	s_cmp_gt_i32 s22, 9
	s_cbranch_scc0 .LBB8_219
; %bb.215:
	global_load_dwordx2 v[2:3], v[0:1], off
	s_mov_b64 s[0:1], 0
	s_branch .LBB8_220
.LBB8_216:
                                        ; implicit-def: $vgpr2_vgpr3
	s_branch .LBB8_238
.LBB8_217:
	s_mov_b64 s[0:1], -1
                                        ; implicit-def: $vgpr2_vgpr3
	s_branch .LBB8_226
.LBB8_218:
	s_mov_b64 s[0:1], -1
                                        ; implicit-def: $vgpr2_vgpr3
	s_branch .LBB8_223
.LBB8_219:
	s_mov_b64 s[0:1], -1
                                        ; implicit-def: $vgpr2_vgpr3
.LBB8_220:
	s_andn2_b64 vcc, exec, s[0:1]
	s_cbranch_vccnz .LBB8_222
; %bb.221:
	global_load_dword v2, v[0:1], off
	s_waitcnt vmcnt(0)
	v_cvt_f64_f32_e32 v[2:3], v2
.LBB8_222:
	s_mov_b64 s[0:1], 0
.LBB8_223:
	s_andn2_b64 vcc, exec, s[0:1]
	s_cbranch_vccnz .LBB8_225
; %bb.224:
	global_load_dword v2, v[0:1], off
	s_waitcnt vmcnt(0)
	v_cvt_f32_f16_e32 v2, v2
	v_cvt_f64_f32_e32 v[2:3], v2
.LBB8_225:
	s_mov_b64 s[0:1], 0
.LBB8_226:
	s_andn2_b64 vcc, exec, s[0:1]
	s_cbranch_vccnz .LBB8_237
; %bb.227:
	s_cmp_lt_i32 s22, 6
	s_cbranch_scc1 .LBB8_230
; %bb.228:
	s_cmp_gt_i32 s22, 6
	s_cbranch_scc0 .LBB8_231
; %bb.229:
	global_load_dwordx2 v[2:3], v[0:1], off
	s_mov_b64 s[0:1], 0
	s_branch .LBB8_232
.LBB8_230:
	s_mov_b64 s[0:1], -1
                                        ; implicit-def: $vgpr2_vgpr3
	s_branch .LBB8_235
.LBB8_231:
	s_mov_b64 s[0:1], -1
                                        ; implicit-def: $vgpr2_vgpr3
.LBB8_232:
	s_andn2_b64 vcc, exec, s[0:1]
	s_cbranch_vccnz .LBB8_234
; %bb.233:
	global_load_dword v2, v[0:1], off
	s_waitcnt vmcnt(0)
	v_cvt_f64_f32_e32 v[2:3], v2
.LBB8_234:
	s_mov_b64 s[0:1], 0
.LBB8_235:
	s_andn2_b64 vcc, exec, s[0:1]
	s_cbranch_vccnz .LBB8_237
; %bb.236:
	global_load_ushort v2, v[0:1], off
	s_waitcnt vmcnt(0)
	v_cvt_f32_f16_e32 v2, v2
	v_cvt_f64_f32_e32 v[2:3], v2
.LBB8_237:
	s_cbranch_execnz .LBB8_257
.LBB8_238:
	s_cmp_lt_i32 s22, 2
	s_cbranch_scc1 .LBB8_242
; %bb.239:
	s_cmp_lt_i32 s22, 3
	s_cbranch_scc1 .LBB8_243
; %bb.240:
	s_cmp_gt_i32 s22, 3
	s_cbranch_scc0 .LBB8_244
; %bb.241:
	global_load_dwordx2 v[2:3], v[0:1], off
	s_mov_b64 s[0:1], 0
	s_waitcnt vmcnt(0)
	v_cvt_f64_i32_e32 v[3:4], v3
	v_cvt_f64_u32_e32 v[5:6], v2
	v_ldexp_f64 v[3:4], v[3:4], 32
	v_add_f64 v[2:3], v[3:4], v[5:6]
	s_branch .LBB8_245
.LBB8_242:
	s_mov_b64 s[0:1], -1
                                        ; implicit-def: $vgpr2_vgpr3
	s_branch .LBB8_251
.LBB8_243:
	s_mov_b64 s[0:1], -1
                                        ; implicit-def: $vgpr2_vgpr3
	s_branch .LBB8_248
.LBB8_244:
	s_mov_b64 s[0:1], -1
                                        ; implicit-def: $vgpr2_vgpr3
.LBB8_245:
	s_andn2_b64 vcc, exec, s[0:1]
	s_cbranch_vccnz .LBB8_247
; %bb.246:
	global_load_dword v2, v[0:1], off
	s_waitcnt vmcnt(0)
	v_cvt_f64_i32_e32 v[2:3], v2
.LBB8_247:
	s_mov_b64 s[0:1], 0
.LBB8_248:
	s_andn2_b64 vcc, exec, s[0:1]
	s_cbranch_vccnz .LBB8_250
; %bb.249:
	global_load_sshort v2, v[0:1], off
	s_waitcnt vmcnt(0)
	v_cvt_f64_i32_e32 v[2:3], v2
.LBB8_250:
	s_mov_b64 s[0:1], 0
.LBB8_251:
	s_andn2_b64 vcc, exec, s[0:1]
	s_cbranch_vccnz .LBB8_257
; %bb.252:
	s_cmp_gt_i32 s22, 0
	s_cbranch_scc0 .LBB8_254
; %bb.253:
	global_load_sbyte v2, v[0:1], off
	s_mov_b64 s[0:1], 0
	s_waitcnt vmcnt(0)
	v_cvt_f64_i32_e32 v[2:3], v2
	s_branch .LBB8_255
.LBB8_254:
	s_mov_b64 s[0:1], -1
                                        ; implicit-def: $vgpr2_vgpr3
.LBB8_255:
	s_andn2_b64 vcc, exec, s[0:1]
	s_cbranch_vccnz .LBB8_257
; %bb.256:
	global_load_ubyte v0, v[0:1], off
	s_waitcnt vmcnt(0)
	v_cvt_f64_u32_e32 v[2:3], v0
.LBB8_257:
	s_branch .LBB8_11
.LBB8_258:
	s_mov_b64 s[0:1], 0
                                        ; implicit-def: $vgpr26
	s_mov_b64 s[18:19], 0
.LBB8_259:
	s_and_b64 s[6:7], s[0:1], exec
	s_and_b64 s[14:15], s[14:15], exec
	s_orn2_b64 s[18:19], s[18:19], exec
.LBB8_260:
	s_or_b64 exec, exec, s[16:17]
	s_mov_b64 s[22:23], 0
	s_mov_b64 s[0:1], 0
                                        ; implicit-def: $vgpr0_vgpr1
                                        ; implicit-def: $vgpr2_vgpr3
	s_and_saveexec_b64 s[16:17], s[18:19]
	s_cbranch_execz .LBB8_269
; %bb.261:
	v_cmp_gt_i32_e32 vcc, s55, v26
	s_mov_b64 s[0:1], -1
	s_mov_b64 s[18:19], s[14:15]
	s_mov_b64 s[20:21], s[6:7]
	s_and_saveexec_b64 s[22:23], vcc
	s_cbranch_execz .LBB8_529
; %bb.262:
	v_mul_lo_u32 v0, v26, s3
	v_mov_b32_e32 v1, s11
	s_and_b32 s26, 0xffff, s54
	s_cmp_lt_i32 s26, 11
	s_waitcnt vmcnt(0)
	v_ashrrev_i32_e32 v2, 31, v0
	v_add_co_u32_e32 v0, vcc, s10, v0
	v_addc_co_u32_e32 v1, vcc, v1, v2, vcc
	s_cbranch_scc1 .LBB8_272
; %bb.263:
	s_cmp_gt_i32 s26, 25
	s_cbranch_scc0 .LBB8_289
; %bb.264:
	s_cmp_gt_i32 s26, 28
	s_cbranch_scc0 .LBB8_291
	;; [unrolled: 3-line block ×4, first 2 shown]
; %bb.267:
	s_cmp_eq_u32 s26, 46
	s_mov_b64 s[20:21], 0
	s_cbranch_scc0 .LBB8_301
; %bb.268:
	global_load_dword v2, v[0:1], off
	s_mov_b64 s[18:19], 0
	s_waitcnt vmcnt(0)
	v_lshlrev_b32_e32 v2, 16, v2
	v_cvt_f64_f32_e32 v[2:3], v2
	s_branch .LBB8_302
.LBB8_269:
	s_or_b64 exec, exec, s[16:17]
	s_mov_b64 s[16:17], 0
	s_and_saveexec_b64 s[18:19], s[14:15]
	s_cbranch_execnz .LBB8_883
.LBB8_270:
	s_or_b64 exec, exec, s[18:19]
	s_and_saveexec_b64 s[14:15], s[20:21]
	s_xor_b64 s[14:15], exec, s[14:15]
	s_cbranch_execz .LBB8_884
.LBB8_271:
	global_load_ubyte v3, v[0:1], off
	v_mov_b32_e32 v4, 0x3ff00000
	s_waitcnt vmcnt(1)
	v_mov_b32_e32 v2, 0
	s_or_b64 s[0:1], s[0:1], exec
	s_waitcnt vmcnt(0)
	v_cmp_ne_u16_e32 vcc, 0, v3
	v_cndmask_b32_e32 v3, 0, v4, vcc
	s_or_b64 exec, exec, s[14:15]
	s_and_saveexec_b64 s[14:15], s[22:23]
	s_cbranch_execz .LBB8_930
	s_branch .LBB8_885
.LBB8_272:
	s_mov_b64 s[0:1], 0
                                        ; implicit-def: $vgpr2_vgpr3
	s_mov_b64 s[18:19], s[14:15]
	s_cbranch_execnz .LBB8_479
.LBB8_273:
	s_andn2_b64 vcc, exec, s[0:1]
	s_cbranch_vccnz .LBB8_527
.LBB8_274:
	s_waitcnt vmcnt(0)
	v_cmp_neq_f64_e32 vcc, 0, v[2:3]
	v_mov_b32_e32 v0, 0
	v_mov_b32_e32 v1, 0x7ff00000
	s_and_saveexec_b64 s[20:21], vcc
	s_cbranch_execz .LBB8_282
; %bb.275:
	v_cmp_ngt_f64_e32 vcc, 0, v[2:3]
	v_mov_b32_e32 v0, 0
	v_mov_b32_e32 v1, 0x7ff80000
	s_and_saveexec_b64 s[24:25], vcc
	s_cbranch_execz .LBB8_281
; %bb.276:
	v_cmp_ge_f64_e32 vcc, 2.0, v[2:3]
                                        ; implicit-def: $vgpr0_vgpr1
	s_and_saveexec_b64 s[0:1], vcc
	s_xor_b64 s[26:27], exec, s[0:1]
	s_cbranch_execz .LBB8_278
; %bb.277:
	v_fma_f64 v[0:1], v[2:3], 0.5, -2.0
	v_mov_b32_e32 v4, 0x977da589
	v_mov_b32_e32 v5, 0x3c833362
	s_mov_b32 s1, 0xbc545cb7
	s_mov_b32 s0, 0x2134d0ef
	;; [unrolled: 1-line block ×5, first 2 shown]
	v_fma_f64 v[4:5], v[0:1], s[0:1], v[4:5]
	s_mov_b32 s1, 0x3c545cb7
	s_mov_b32 s31, 0x3fc7474d
	;; [unrolled: 1-line block ×7, first 2 shown]
	v_fma_f64 v[6:7], v[0:1], v[4:5], s[0:1]
	s_mov_b32 s0, 0x721ebbb4
	s_mov_b32 s1, 0xbcb184eb
	;; [unrolled: 1-line block ×7, first 2 shown]
	v_add_f64 v[6:7], v[6:7], s[0:1]
	s_mov_b32 s0, 0x93f65eba
	s_mov_b32 s1, 0x3cdee6d8
	;; [unrolled: 1-line block ×7, first 2 shown]
	v_fma_f64 v[4:5], v[0:1], v[6:7], -v[4:5]
	s_mov_b32 s51, 0x3ff71547
	s_mov_b32 s46, 0x342d06ea
	;; [unrolled: 1-line block ×3, first 2 shown]
	v_add_f64 v[4:5], v[4:5], s[0:1]
	s_mov_b32 s0, 0xc297fbeb
	s_mov_b32 s1, 0xbd0a5022
	v_fma_f64 v[6:7], v[0:1], v[4:5], -v[6:7]
	v_add_f64 v[6:7], v[6:7], s[0:1]
	s_mov_b32 s0, 0x4b262627
	s_mov_b32 s1, 0x3d359b46
	v_fma_f64 v[4:5], v[0:1], v[6:7], -v[4:5]
	;; [unrolled: 4-line block ×4, first 2 shown]
	v_add_f64 v[8:9], v[4:5], s[0:1]
	v_mul_f64 v[4:5], v[2:3], 0.5
	s_mov_b32 s1, 0x3fe55555
	s_mov_b32 s0, 0x55555555
	v_fma_f64 v[6:7], v[0:1], v[8:9], -v[6:7]
	v_frexp_mant_f64_e32 v[10:11], v[4:5]
	v_frexp_exp_i32_f64_e32 v27, v[4:5]
	v_add_f64 v[6:7], v[6:7], s[28:29]
	v_cmp_gt_f64_e32 vcc, s[0:1], v[10:11]
	s_mov_b32 s28, 0xcc743c10
	s_mov_b32 s29, 0x3dda98be
	;; [unrolled: 1-line block ×3, first 2 shown]
	v_fma_f64 v[8:9], v[0:1], v[6:7], -v[8:9]
	v_cndmask_b32_e64 v12, 0, 1, vcc
	v_ldexp_f64 v[10:11], v[10:11], v12
	v_subbrev_co_u32_e32 v27, vcc, 0, v27, vcc
	v_cvt_f64_i32_e32 v[27:28], v27
	v_add_f64 v[8:9], v[8:9], s[28:29]
	s_mov_b32 s28, 0x13ae9556
	v_add_f64 v[12:13], v[10:11], 1.0
	s_mov_b32 s29, 0xbe01d4fe
	v_add_f64 v[18:19], v[10:11], -1.0
	v_fma_f64 v[6:7], v[0:1], v[8:9], -v[6:7]
	v_rcp_f64_e32 v[14:15], v[12:13]
	v_add_f64 v[20:21], v[12:13], -1.0
	v_add_f64 v[6:7], v[6:7], s[28:29]
	s_mov_b32 s28, 0xa454cb34
	s_mov_b32 s29, 0x3e26d903
	v_add_f64 v[10:11], v[10:11], -v[20:21]
	v_fma_f64 v[8:9], v[0:1], v[6:7], -v[8:9]
	v_fma_f64 v[16:17], -v[12:13], v[14:15], 1.0
	v_add_f64 v[8:9], v[8:9], s[28:29]
	s_mov_b32 s28, 0x8c0b30ab
	v_fma_f64 v[14:15], v[16:17], v[14:15], v[14:15]
	s_mov_b32 s29, 0xbe4beaf6
	v_fma_f64 v[6:7], v[0:1], v[8:9], -v[6:7]
	v_fma_f64 v[16:17], -v[12:13], v[14:15], 1.0
	v_fma_f64 v[14:15], v[16:17], v[14:15], v[14:15]
	v_add_f64 v[16:17], v[6:7], s[28:29]
	s_mov_b32 s28, 0x9d4d6435
	s_mov_b32 s29, 0x3e703b76
	v_mul_f64 v[6:7], v[18:19], v[14:15]
	v_fma_f64 v[8:9], v[0:1], v[16:17], -v[8:9]
	v_mul_f64 v[22:23], v[12:13], v[6:7]
	v_add_f64 v[8:9], v[8:9], s[28:29]
	s_mov_b32 s28, 0x8f227f8d
	s_mov_b32 s29, 0xbe91ec63
	v_fma_f64 v[12:13], v[6:7], v[12:13], -v[22:23]
	v_fma_f64 v[16:17], v[0:1], v[8:9], -v[16:17]
	v_fma_f64 v[10:11], v[6:7], v[10:11], v[12:13]
	v_add_f64 v[12:13], v[16:17], s[28:29]
	s_mov_b32 s28, 0x978cf4ac
	s_mov_b32 s29, 0x3eb2bf24
	v_add_f64 v[16:17], v[22:23], v[10:11]
	v_fma_f64 v[8:9], v[0:1], v[12:13], -v[8:9]
	v_add_f64 v[20:21], v[18:19], -v[16:17]
	v_add_f64 v[8:9], v[8:9], s[28:29]
	v_add_f64 v[22:23], v[16:17], -v[22:23]
	s_mov_b32 s28, 0xcba56427
	s_mov_b32 s29, 0xbed2866f
	v_add_f64 v[18:19], v[18:19], -v[20:21]
	v_fma_f64 v[12:13], v[0:1], v[8:9], -v[12:13]
	v_add_f64 v[10:11], v[22:23], -v[10:11]
	v_mov_b32_e32 v22, 0xc384c2aa
	v_mov_b32_e32 v23, 0x3d27fb0a
	v_add_f64 v[16:17], v[18:19], -v[16:17]
	v_add_f64 v[12:13], v[12:13], s[28:29]
	s_mov_b32 s28, 0xbe9a2859
	s_mov_b32 s29, 0x3ef13f58
	v_add_f64 v[10:11], v[10:11], v[16:17]
	v_fma_f64 v[8:9], v[0:1], v[12:13], -v[8:9]
	v_add_f64 v[10:11], v[20:21], v[10:11]
	v_add_f64 v[16:17], v[8:9], s[28:29]
	s_mov_b32 s28, 0x59c41d5a
	s_mov_b32 s29, 0xbf0e2b26
	v_mul_f64 v[8:9], v[14:15], v[10:11]
	v_fma_f64 v[12:13], v[0:1], v[16:17], -v[12:13]
	v_mov_b32_e32 v14, 0x6b47b09a
	v_mov_b32_e32 v15, 0x3fc38538
	v_add_f64 v[10:11], v[6:7], v[8:9]
	v_add_f64 v[18:19], v[12:13], s[28:29]
	s_mov_b32 s28, 0xbf559e2b
	s_mov_b32 s29, 0x3fc3ab76
	v_mul_f64 v[12:13], v[10:11], v[10:11]
	v_fma_f64 v[16:17], v[0:1], v[18:19], -v[16:17]
	v_add_f64 v[6:7], v[10:11], -v[6:7]
	v_fma_f64 v[14:15], v[12:13], s[28:29], v[14:15]
	s_mov_b32 s28, 0x74107cab
	s_mov_b32 s29, 0x3f28b51b
	v_add_f64 v[16:17], v[16:17], s[28:29]
	v_mul_f64 v[24:25], v[10:11], v[12:13]
	s_mov_b32 s29, 0x3fe62e42
	s_mov_b32 s28, 0xfefa39ef
	v_mul_f64 v[31:32], v[27:28], s[28:29]
	v_fma_f64 v[14:15], v[12:13], v[14:15], s[30:31]
	v_add_f64 v[8:9], v[8:9], -v[6:7]
	s_mov_b32 s31, 0x3c7abc9e
	v_fma_f64 v[18:19], v[0:1], v[16:17], -v[18:19]
	s_mov_b32 s30, 0x3b39803f
	v_fma_f64 v[14:15], v[12:13], v[14:15], s[36:37]
	s_mov_b32 s36, 0xf3dde3dd
	s_mov_b32 s37, 0x3f859961
	v_add_f64 v[18:19], v[18:19], s[38:39]
	v_ldexp_f64 v[8:9], v[8:9], 1
	s_mov_b32 s38, 0xf121b6f0
	s_mov_b32 s39, 0xbf984e9e
	v_fma_f64 v[20:21], v[12:13], v[14:15], s[42:43]
	v_fma_f64 v[14:15], v[2:3], v[2:3], -2.0
	s_mov_b32 s42, 0xcea8a32d
	v_fma_f64 v[16:17], v[0:1], v[18:19], -v[16:17]
	s_mov_b32 s43, 0x3fa93e8a
	v_fma_f64 v[20:21], v[12:13], v[20:21], s[34:35]
	v_fma_f64 v[22:23], v[14:15], s[48:49], v[22:23]
	s_mov_b32 s49, 0xbca3cee1
	v_add_f64 v[16:17], v[16:17], s[44:45]
	s_mov_b32 s44, 0x47512144
	s_mov_b32 s45, 0x3da6c25c
	;; [unrolled: 1-line block ×4, first 2 shown]
	v_fma_f64 v[12:13], v[12:13], v[20:21], s[0:1]
	v_ldexp_f64 v[20:21], v[10:11], 1
	v_fma_f64 v[29:30], v[14:15], v[22:23], s[48:49]
	v_fma_f64 v[18:19], v[0:1], v[16:17], -v[18:19]
	s_mov_b32 s0, 0x77ac88c0
	s_mov_b32 s1, 0x3fc5f7ac
	v_mul_f64 v[12:13], v[24:25], v[12:13]
	v_mul_f64 v[24:25], v[2:3], s[50:51]
	v_add_f64 v[18:19], v[18:19], s[40:41]
	s_mov_b32 s40, 0x67e58a13
	s_mov_b32 s41, 0x3e205c13
	v_add_f64 v[10:11], v[20:21], v[12:13]
	v_rndne_f64_e32 v[6:7], v[24:25]
	v_add_f64 v[24:25], v[29:30], s[44:45]
	v_fma_f64 v[16:17], v[0:1], v[18:19], -v[16:17]
	v_fma_f64 v[29:30], v[27:28], s[28:29], -v[31:32]
	s_mov_b32 s29, 0xbfe62e42
	v_add_f64 v[20:21], v[10:11], -v[20:21]
	v_fma_f64 v[2:3], v[6:7], s[28:29], v[2:3]
	v_fma_f64 v[22:23], v[14:15], v[24:25], -v[22:23]
	v_add_f64 v[16:17], v[16:17], s[36:37]
	v_fma_f64 v[27:28], v[27:28], s[30:31], v[29:30]
	s_mov_b32 s31, 0xbc7abc9e
	s_mov_b32 s28, 0x6a5dcb37
	;; [unrolled: 1-line block ×3, first 2 shown]
	v_add_f64 v[12:13], v[12:13], -v[20:21]
	v_fma_f64 v[2:3], v[6:7], s[30:31], v[2:3]
	v_mov_b32_e32 v20, 0xfca7ab0c
	v_fma_f64 v[18:19], v[0:1], v[16:17], -v[18:19]
	v_mov_b32_e32 v21, 0x3e928af3
	s_mov_b32 s30, 0x623fde64
	s_mov_b32 s31, 0x3ec71dee
	;; [unrolled: 1-line block ×3, first 2 shown]
	v_add_f64 v[8:9], v[8:9], v[12:13]
	v_fma_f64 v[20:21], v[2:3], s[28:29], v[20:21]
	s_mov_b32 s28, 0xe7f95efc
	v_add_f64 v[12:13], v[18:19], s[38:39]
	v_add_f64 v[18:19], v[22:23], s[40:41]
	;; [unrolled: 1-line block ×3, first 2 shown]
	s_mov_b32 s29, 0x3e9102bc
	s_mov_b32 s37, 0x3efa0199
	v_add_f64 v[29:30], v[10:11], v[8:9]
	v_fma_f64 v[20:21], v[2:3], v[20:21], s[30:31]
	s_mov_b32 s30, 0xfe8cfca0
	v_fma_f64 v[16:17], v[0:1], v[12:13], -v[16:17]
	v_fma_f64 v[24:25], v[14:15], v[18:19], -v[24:25]
	s_mov_b32 s31, 0x3ef7f900
	v_add_f64 v[31:32], v[22:23], -v[31:32]
	v_add_f64 v[33:34], v[22:23], v[29:30]
	v_fma_f64 v[20:21], v[2:3], v[20:21], s[36:37]
	v_add_f64 v[10:11], v[29:30], -v[10:11]
	v_add_f64 v[16:17], v[16:17], s[42:43]
	v_add_f64 v[24:25], v[24:25], s[28:29]
	s_mov_b32 s28, 0x14761f6e
	s_mov_b32 s29, 0x3f2a01a0
	;; [unrolled: 1-line block ×3, first 2 shown]
	v_add_f64 v[35:36], v[33:34], -v[22:23]
	v_fma_f64 v[20:21], v[2:3], v[20:21], s[28:29]
	s_mov_b32 s37, 0x3f56c16c
	v_fma_f64 v[12:13], v[0:1], v[16:17], -v[12:13]
	v_fma_f64 v[18:19], v[14:15], v[24:25], -v[18:19]
	v_add_f64 v[27:28], v[27:28], -v[31:32]
	v_add_f64 v[8:9], v[8:9], -v[10:11]
	s_mov_b32 s28, 0x11122322
	v_add_f64 v[37:38], v[33:34], -v[35:36]
	v_fma_f64 v[20:21], v[2:3], v[20:21], s[36:37]
	v_add_f64 v[10:11], v[29:30], -v[35:36]
	v_add_f64 v[12:13], v[12:13], s[46:47]
	v_add_f64 v[18:19], v[18:19], s[30:31]
	s_mov_b32 s29, 0x3f811111
	s_mov_b32 s30, 0x75633d73
	;; [unrolled: 1-line block ×3, first 2 shown]
	v_add_f64 v[22:23], v[22:23], -v[37:38]
	v_fma_f64 v[20:21], v[2:3], v[20:21], s[28:29]
	v_add_f64 v[29:30], v[27:28], v[8:9]
	v_fma_f64 v[16:17], v[0:1], v[12:13], -v[16:17]
	v_fma_f64 v[24:25], v[14:15], v[18:19], -v[24:25]
	s_mov_b32 s28, 0x55555511
	s_mov_b32 s29, 0x3fc55555
	v_add_f64 v[10:11], v[10:11], v[22:23]
	v_add_f64 v[16:17], v[16:17], s[0:1]
	;; [unrolled: 1-line block ×3, first 2 shown]
	s_mov_b32 s0, 0x555502a1
	s_mov_b32 s1, 0x3fa55555
	v_fma_f64 v[20:21], v[2:3], v[20:21], s[0:1]
	v_add_f64 v[24:25], v[29:30], -v[27:28]
	v_add_f64 v[10:11], v[29:30], v[10:11]
	s_mov_b32 s0, 0x554a9085
	v_fma_f64 v[12:13], v[0:1], v[16:17], -v[12:13]
	v_fma_f64 v[18:19], v[14:15], v[22:23], -v[18:19]
	s_mov_b32 s1, 0x3fa26bf6
	v_fma_f64 v[20:21], v[2:3], v[20:21], s[28:29]
	v_add_f64 v[29:30], v[29:30], -v[24:25]
	v_add_f64 v[31:32], v[33:34], v[10:11]
	v_add_f64 v[8:9], v[8:9], -v[24:25]
	v_add_f64 v[12:13], v[12:13], s[34:35]
	v_add_f64 v[18:19], v[18:19], s[0:1]
	s_mov_b32 s0, 11
	s_mov_b32 s1, 0x3fe00000
	v_fma_f64 v[20:21], v[2:3], v[20:21], s[0:1]
	v_add_f64 v[24:25], v[27:28], -v[29:30]
	v_add_f64 v[27:28], v[31:32], -v[33:34]
	s_mov_b32 s0, 0x9035a22a
	v_fma_f64 v[0:1], v[0:1], v[12:13], -v[16:17]
	v_fma_f64 v[12:13], v[14:15], v[18:19], -v[22:23]
	s_mov_b32 s1, 0x3fe5a84e
	s_mov_b32 s28, 0x81213db9
	v_fma_f64 v[20:21], v[2:3], v[20:21], 1.0
	s_mov_b32 s29, 0x3fd608d8
	v_add_f64 v[8:9], v[8:9], v[24:25]
	v_add_f64 v[10:11], v[10:11], -v[27:28]
	v_add_f64 v[0:1], v[0:1], s[0:1]
	v_add_f64 v[12:13], v[12:13], s[28:29]
	s_mov_b32 s0, 0xe9d2f61f
	s_mov_b32 s28, 0
	v_fma_f64 v[2:3], v[2:3], v[20:21], 1.0
	s_mov_b32 s1, 0xbfe12166
	s_mov_b32 s29, 0x7ff00000
	v_add_f64 v[8:9], v[8:9], v[10:11]
	v_add_f64 v[0:1], v[0:1], -v[16:17]
	v_fma_f64 v[10:11], v[14:15], v[12:13], -v[18:19]
	v_cvt_i32_f64_e32 v12, v[6:7]
	v_cmp_neq_f64_e32 vcc, s[28:29], v[4:5]
	v_ldexp_f64 v[2:3], v[2:3], v12
	v_add_f64 v[6:7], v[31:32], v[8:9]
	v_mul_f64 v[0:1], v[0:1], 0.5
	v_add_f64 v[8:9], v[10:11], s[0:1]
	v_cmp_neq_f64_e64 s[0:1], 0, v[4:5]
	v_mov_b32_e32 v10, 0x7ff00000
	v_cndmask_b32_e32 v7, v10, v7, vcc
	v_mul_f64 v[0:1], v[2:3], v[0:1]
	v_mov_b32_e32 v10, 0xfff00000
	s_and_b64 vcc, s[0:1], vcc
	v_cndmask_b32_e64 v7, v10, v7, s[0:1]
	v_cndmask_b32_e32 v6, 0, v6, vcc
	v_add_f64 v[4:5], v[8:9], -v[18:19]
	v_mul_f64 v[0:1], v[6:7], v[0:1]
	v_fma_f64 v[0:1], v[4:5], 0.5, -v[0:1]
	v_mul_f64 v[0:1], v[2:3], v[0:1]
                                        ; implicit-def: $vgpr2_vgpr3
.LBB8_278:
	s_andn2_saveexec_b64 s[0:1], s[26:27]
	s_cbranch_execz .LBB8_280
; %bb.279:
	s_mov_b32 s26, 0
	s_mov_b32 s27, 0x40200000
	v_div_scale_f64 v[0:1], s[28:29], v[2:3], v[2:3], s[26:27]
	v_rcp_f64_e32 v[4:5], v[0:1]
	v_fma_f64 v[6:7], -v[0:1], v[4:5], 1.0
	v_fma_f64 v[4:5], v[4:5], v[6:7], v[4:5]
	v_div_scale_f64 v[6:7], vcc, s[26:27], v[2:3], s[26:27]
	v_fma_f64 v[8:9], -v[0:1], v[4:5], 1.0
	v_fma_f64 v[4:5], v[4:5], v[8:9], v[4:5]
	v_mul_f64 v[8:9], v[6:7], v[4:5]
	v_fma_f64 v[0:1], -v[0:1], v[8:9], v[6:7]
	v_div_fmas_f64 v[0:1], v[0:1], v[4:5], v[8:9]
	v_mov_b32_e32 v4, 0x93812603
	v_mov_b32_e32 v5, 0xbc72fecc
	;; [unrolled: 1-line block ×3, first 2 shown]
	v_div_fixup_f64 v[0:1], v[0:1], v[2:3], s[26:27]
	s_mov_b32 s27, 0x3c5871a5
	s_mov_b32 s26, 0xcf8c9ee1
	v_add_f64 v[0:1], v[0:1], -2.0
	v_fma_f64 v[4:5], v[0:1], s[26:27], v[4:5]
	s_mov_b32 s27, 0xbc5871a5
	v_fma_f64 v[6:7], v[0:1], v[4:5], s[26:27]
	s_mov_b32 s26, 0x41a8cdf4
	s_mov_b32 s27, 0x3c8e092e
	v_add_f64 v[6:7], v[6:7], s[26:27]
	s_mov_b32 s26, 0x74d77641
	s_mov_b32 s27, 0xbca82f94
	v_fma_f64 v[4:5], v[0:1], v[6:7], -v[4:5]
	v_add_f64 v[4:5], v[4:5], s[26:27]
	s_mov_b32 s26, 0x6b94785b
	s_mov_b32 s27, 0x3cc3dbf9
	v_fma_f64 v[6:7], v[0:1], v[4:5], -v[6:7]
	v_add_f64 v[6:7], v[6:7], s[26:27]
	s_mov_b32 s26, 0xecfadd36
	s_mov_b32 s27, 0xbce0a690
	v_fma_f64 v[4:5], v[0:1], v[6:7], -v[4:5]
	v_add_f64 v[4:5], v[4:5], s[26:27]
	s_mov_b32 s26, 0x4a7ddc98
	s_mov_b32 s27, 0x3cfc8d9c
	v_fma_f64 v[6:7], v[0:1], v[4:5], -v[6:7]
	v_add_f64 v[6:7], v[6:7], s[26:27]
	s_mov_b32 s26, 0xbb056fc2
	s_mov_b32 s27, 0xbd19145e
	v_fma_f64 v[4:5], v[0:1], v[6:7], -v[4:5]
	v_add_f64 v[4:5], v[4:5], s[26:27]
	s_mov_b32 s26, 0xcd94cfe2
	s_mov_b32 s27, 0x3d369c4e
	v_fma_f64 v[6:7], v[0:1], v[4:5], -v[6:7]
	v_add_f64 v[6:7], v[6:7], s[26:27]
	s_mov_b32 s26, 0x21a470d1
	s_mov_b32 s27, 0xbd54f877
	v_fma_f64 v[4:5], v[0:1], v[6:7], -v[4:5]
	v_add_f64 v[4:5], v[4:5], s[26:27]
	s_mov_b32 s26, 0x2fccfc25
	s_mov_b32 s27, 0x3d740fa3
	v_fma_f64 v[6:7], v[0:1], v[4:5], -v[6:7]
	v_add_f64 v[6:7], v[6:7], s[26:27]
	s_mov_b32 s26, 0x3f005143
	s_mov_b32 s27, 0xbd93dafc
	v_fma_f64 v[4:5], v[0:1], v[6:7], -v[4:5]
	v_add_f64 v[4:5], v[4:5], s[26:27]
	s_mov_b32 s26, 0x475fbcc7
	s_mov_b32 s27, 0x3db46808
	v_fma_f64 v[6:7], v[0:1], v[4:5], -v[6:7]
	v_add_f64 v[6:7], v[6:7], s[26:27]
	s_mov_b32 s26, 0xd2e7c935
	s_mov_b32 s27, 0xbdd5df95
	v_fma_f64 v[4:5], v[0:1], v[6:7], -v[4:5]
	v_add_f64 v[4:5], v[4:5], s[26:27]
	s_mov_b32 s26, 0x819ff608
	s_mov_b32 s27, 0x3df8956c
	v_fma_f64 v[6:7], v[0:1], v[4:5], -v[6:7]
	v_add_f64 v[6:7], v[6:7], s[26:27]
	s_mov_b32 s26, 0xf22bf5db
	s_mov_b32 s27, 0xbe1d29d5
	v_fma_f64 v[4:5], v[0:1], v[6:7], -v[4:5]
	v_add_f64 v[4:5], v[4:5], s[26:27]
	s_mov_b32 s26, 0x33f428e
	s_mov_b32 s27, 0x3e4269a0
	v_fma_f64 v[6:7], v[0:1], v[4:5], -v[6:7]
	v_add_f64 v[6:7], v[6:7], s[26:27]
	s_mov_b32 s26, 0x1b54f2af
	s_mov_b32 s27, 0xbe690554
	v_fma_f64 v[4:5], v[0:1], v[6:7], -v[4:5]
	v_add_f64 v[4:5], v[4:5], s[26:27]
	s_mov_b32 s26, 0x81e3e46f
	s_mov_b32 s27, 0x3e929159
	v_fma_f64 v[6:7], v[0:1], v[4:5], -v[6:7]
	v_add_f64 v[6:7], v[6:7], s[26:27]
	s_mov_b32 s26, 0x7f18d3a9
	s_mov_b32 s27, 0xbebebb54
	v_fma_f64 v[4:5], v[0:1], v[6:7], -v[4:5]
	v_add_f64 v[4:5], v[4:5], s[26:27]
	s_mov_b32 s26, 0
	s_brev_b32 s27, 8
	v_cmp_gt_f64_e32 vcc, s[26:27], v[2:3]
	s_mov_b32 s26, 0xcc7470a9
	s_mov_b32 s27, 0x3eed413f
	v_fma_f64 v[6:7], v[0:1], v[4:5], -v[6:7]
	v_cndmask_b32_e32 v8, 0, v8, vcc
	v_ldexp_f64 v[2:3], v[2:3], v8
	v_add_f64 v[6:7], v[6:7], s[26:27]
	s_mov_b32 s26, 0xe7889f42
	s_mov_b32 s27, 0xbf20d797
	v_rsq_f64_e32 v[8:9], v[2:3]
	v_fma_f64 v[4:5], v[0:1], v[6:7], -v[4:5]
	v_add_f64 v[4:5], v[4:5], s[26:27]
	s_mov_b32 s26, 0xfca79342
	s_mov_b32 s27, 0x3f59b891
	v_mul_f64 v[10:11], v[2:3], v[8:9]
	v_mul_f64 v[8:9], v[8:9], 0.5
	v_fma_f64 v[6:7], v[0:1], v[4:5], -v[6:7]
	v_fma_f64 v[12:13], -v[8:9], v[10:11], 0.5
	v_add_f64 v[6:7], v[6:7], s[26:27]
	s_mov_b32 s26, 0x2d4ff71e
	s_mov_b32 s27, 0xbfa019f7
	v_fma_f64 v[10:11], v[10:11], v[12:13], v[10:11]
	v_fma_f64 v[8:9], v[8:9], v[12:13], v[8:9]
	v_fma_f64 v[4:5], v[0:1], v[6:7], -v[4:5]
	v_fma_f64 v[12:13], -v[10:11], v[10:11], v[2:3]
	v_add_f64 v[4:5], v[4:5], s[26:27]
	s_mov_b32 s26, 0x9f4e6907
	s_mov_b32 s27, 0x400385bd
	v_fma_f64 v[10:11], v[12:13], v[8:9], v[10:11]
	v_fma_f64 v[0:1], v[0:1], v[4:5], -v[6:7]
	v_fma_f64 v[4:5], -v[10:11], v[10:11], v[2:3]
	v_add_f64 v[0:1], v[0:1], s[26:27]
	v_fma_f64 v[4:5], v[4:5], v[8:9], v[10:11]
	v_add_f64 v[0:1], v[0:1], -v[6:7]
	v_mov_b32_e32 v6, 0xffffff80
	v_mov_b32_e32 v7, 0x260
	v_cndmask_b32_e32 v6, 0, v6, vcc
	v_cmp_class_f64_e32 vcc, v[2:3], v7
	v_ldexp_f64 v[4:5], v[4:5], v6
	v_mul_f64 v[0:1], v[0:1], 0.5
	v_cndmask_b32_e32 v3, v5, v3, vcc
	v_cndmask_b32_e32 v2, v4, v2, vcc
	v_div_scale_f64 v[4:5], s[26:27], v[2:3], v[2:3], v[0:1]
	v_div_scale_f64 v[10:11], vcc, v[0:1], v[2:3], v[0:1]
	v_rcp_f64_e32 v[6:7], v[4:5]
	v_fma_f64 v[8:9], -v[4:5], v[6:7], 1.0
	v_fma_f64 v[6:7], v[6:7], v[8:9], v[6:7]
	v_fma_f64 v[8:9], -v[4:5], v[6:7], 1.0
	v_fma_f64 v[6:7], v[6:7], v[8:9], v[6:7]
	v_mul_f64 v[8:9], v[10:11], v[6:7]
	v_fma_f64 v[4:5], -v[4:5], v[8:9], v[10:11]
	v_div_fmas_f64 v[4:5], v[4:5], v[6:7], v[8:9]
	v_div_fixup_f64 v[0:1], v[4:5], v[2:3], v[0:1]
.LBB8_280:
	s_or_b64 exec, exec, s[0:1]
.LBB8_281:
	s_or_b64 exec, exec, s[24:25]
.LBB8_282:
	s_or_b64 exec, exec, s[20:21]
	v_mul_lo_u32 v2, v26, s2
	v_mov_b32_e32 v3, s9
	s_and_b32 s28, s33, 0xff
	s_cmp_lt_i32 s28, 11
	v_ashrrev_i32_e32 v5, 31, v2
	v_add_co_u32_e32 v4, vcc, s8, v2
	v_addc_co_u32_e32 v5, vcc, v3, v5, vcc
	s_cbranch_scc1 .LBB8_290
; %bb.283:
	s_and_b32 s29, 0xffff, s28
	s_cmp_gt_i32 s29, 25
	s_cbranch_scc0 .LBB8_292
; %bb.284:
	s_cmp_gt_i32 s29, 28
	s_cbranch_scc0 .LBB8_294
; %bb.285:
	;; [unrolled: 3-line block ×4, first 2 shown]
	s_mov_b64 s[24:25], 0
	s_mov_b64 s[0:1], -1
	s_cmp_eq_u32 s29, 46
	s_mov_b64 s[20:21], 0
	s_cbranch_scc0 .LBB8_306
; %bb.288:
	v_cvt_f32_f64_e32 v2, v[0:1]
	s_movk_i32 s0, 0x7fff
	v_mov_b32_e32 v3, 0x7fc0
	s_mov_b64 s[20:21], -1
	v_bfe_u32 v6, v2, 16, 1
	v_cmp_o_f32_e32 vcc, v2, v2
	v_add3_u32 v2, v2, v6, s0
	v_cndmask_b32_sdwa v2, v3, v2, vcc dst_sel:DWORD dst_unused:UNUSED_PAD src0_sel:DWORD src1_sel:WORD_1
	global_store_dword v[4:5], v2, off
	s_mov_b64 s[0:1], 0
	s_branch .LBB8_306
.LBB8_289:
	s_mov_b64 s[20:21], -1
	s_mov_b64 s[0:1], 0
	s_mov_b64 s[18:19], s[14:15]
                                        ; implicit-def: $vgpr2_vgpr3
	s_branch .LBB8_445
.LBB8_290:
	s_mov_b64 s[24:25], -1
	s_mov_b64 s[20:21], 0
	s_mov_b64 s[0:1], s[6:7]
	s_branch .LBB8_375
.LBB8_291:
	s_mov_b64 s[20:21], -1
	s_mov_b64 s[0:1], 0
	s_mov_b64 s[18:19], s[14:15]
                                        ; implicit-def: $vgpr2_vgpr3
	s_branch .LBB8_424
.LBB8_292:
	s_mov_b64 s[24:25], -1
	s_mov_b64 s[20:21], 0
	s_mov_b64 s[0:1], s[6:7]
	s_branch .LBB8_333
.LBB8_293:
	s_mov_b64 s[20:21], -1
	s_mov_b64 s[0:1], 0
	s_mov_b64 s[18:19], s[14:15]
                                        ; implicit-def: $vgpr2_vgpr3
	s_branch .LBB8_419
.LBB8_294:
	s_mov_b64 s[24:25], -1
	s_mov_b64 s[20:21], 0
	s_mov_b64 s[0:1], s[6:7]
	s_branch .LBB8_316
.LBB8_295:
	s_andn2_saveexec_b64 s[22:23], s[22:23]
	s_cbranch_execz .LBB8_63
.LBB8_296:
	s_mov_b32 s26, 0x46000000
	v_add_f32_e64 v3, |v2|, s26
	v_and_b32_e32 v3, 0xff, v3
	v_cmp_ne_u32_e32 vcc, 0, v3
	s_andn2_b64 s[18:19], s[18:19], exec
	s_and_b64 s[26:27], vcc, exec
	s_or_b64 s[18:19], s[18:19], s[26:27]
	s_or_b64 exec, exec, s[22:23]
	v_mov_b32_e32 v6, 0
	s_and_saveexec_b64 s[22:23], s[18:19]
	s_cbranch_execnz .LBB8_64
	s_branch .LBB8_65
.LBB8_297:
	s_mov_b64 s[20:21], -1
	s_mov_b64 s[0:1], 0
	s_mov_b64 s[18:19], s[14:15]
                                        ; implicit-def: $vgpr2_vgpr3
	s_branch .LBB8_302
.LBB8_298:
	s_mov_b64 s[24:25], -1
	s_mov_b64 s[20:21], 0
	s_mov_b64 s[0:1], s[6:7]
	s_branch .LBB8_312
.LBB8_299:
	s_andn2_saveexec_b64 s[22:23], s[22:23]
	s_cbranch_execz .LBB8_76
.LBB8_300:
	s_mov_b32 s26, 0x42800000
	v_add_f32_e64 v3, |v2|, s26
	v_and_b32_e32 v3, 0xff, v3
	v_cmp_ne_u32_e32 vcc, 0, v3
	s_andn2_b64 s[18:19], s[18:19], exec
	s_and_b64 s[26:27], vcc, exec
	s_or_b64 s[18:19], s[18:19], s[26:27]
	s_or_b64 exec, exec, s[22:23]
	v_mov_b32_e32 v6, 0
	s_and_saveexec_b64 s[22:23], s[18:19]
	s_cbranch_execnz .LBB8_77
	s_branch .LBB8_78
.LBB8_301:
	s_mov_b64 s[18:19], -1
                                        ; implicit-def: $vgpr2_vgpr3
	s_mov_b64 s[0:1], 0
.LBB8_302:
	s_and_b64 vcc, exec, s[20:21]
	s_cbranch_vccz .LBB8_418
; %bb.303:
	s_cmp_eq_u32 s26, 44
	s_cbranch_scc0 .LBB8_417
; %bb.304:
	global_load_ubyte v4, v[0:1], off
	s_movk_i32 s18, 0xff
	v_bfrev_b32_e32 v5, 4
	v_mov_b32_e32 v6, 0x7ff80000
	v_bfrev_b32_e32 v7, 28
	s_mov_b64 s[0:1], -1
	s_waitcnt vmcnt(0)
	v_lshlrev_b32_e32 v2, 23, v4
	v_cvt_f64_f32_e32 v[2:3], v2
	v_cmp_ne_u32_e32 vcc, s18, v4
	s_mov_b64 s[18:19], 0
	v_cndmask_b32_e32 v2, v5, v2, vcc
	v_cndmask_b32_e32 v3, v6, v3, vcc
	v_cmp_ne_u32_e32 vcc, 0, v4
	v_cndmask_b32_e32 v3, v7, v3, vcc
	v_cndmask_b32_e32 v2, 0, v2, vcc
	s_branch .LBB8_418
.LBB8_305:
	s_mov_b64 s[24:25], -1
	s_mov_b64 s[20:21], 0
	s_mov_b64 s[0:1], s[6:7]
.LBB8_306:
	s_and_b64 vcc, exec, s[24:25]
	s_cbranch_vccz .LBB8_311
; %bb.307:
	s_cmp_eq_u32 s29, 44
	s_mov_b64 s[0:1], -1
	s_cbranch_scc0 .LBB8_311
; %bb.308:
	v_cvt_f32_f64_e32 v2, v[0:1]
	s_movk_i32 s0, 0xff
	v_mov_b32_e32 v6, 0xff
	v_bfe_u32 v3, v2, 23, 8
	v_cmp_ne_u32_e32 vcc, s0, v3
	s_and_saveexec_b64 s[20:21], vcc
; %bb.309:
	s_mov_b32 s0, 0x3fffff
	v_lshrrev_b32_e32 v6, 23, v2
	v_and_b32_e32 v7, 0x400000, v2
	v_and_or_b32 v2, v2, s0, v3
	v_cmp_ne_u32_e32 vcc, 0, v7
	v_cmp_ne_u32_e64 s[0:1], 0, v2
	s_and_b64 s[0:1], vcc, s[0:1]
	v_cndmask_b32_e64 v2, 0, 1, s[0:1]
	v_add_u32_e32 v6, v6, v2
; %bb.310:
	s_or_b64 exec, exec, s[20:21]
	s_mov_b64 s[20:21], -1
	s_mov_b64 s[0:1], 0
	global_store_byte v[4:5], v6, off
.LBB8_311:
	s_mov_b64 s[24:25], 0
.LBB8_312:
	s_and_b64 vcc, exec, s[24:25]
	s_cbranch_vccz .LBB8_315
; %bb.313:
	s_cmp_eq_u32 s29, 29
	s_mov_b64 s[0:1], -1
	s_cbranch_scc0 .LBB8_315
; %bb.314:
	v_trunc_f64_e32 v[2:3], v[0:1]
	s_movk_i32 s0, 0xffe0
	s_mov_b64 s[20:21], -1
	s_mov_b64 s[24:25], 0
	v_ldexp_f64 v[6:7], v[2:3], s0
	s_mov_b32 s0, 0
	s_mov_b32 s1, 0xc1f00000
	v_floor_f64_e32 v[6:7], v[6:7]
	v_fma_f64 v[2:3], v[6:7], s[0:1], v[2:3]
	v_cvt_u32_f64_e32 v7, v[6:7]
	s_mov_b64 s[0:1], 0
	v_cvt_u32_f64_e32 v6, v[2:3]
	global_store_dwordx2 v[4:5], v[6:7], off
	s_branch .LBB8_316
.LBB8_315:
	s_mov_b64 s[24:25], 0
.LBB8_316:
	s_and_b64 vcc, exec, s[24:25]
	s_cbranch_vccz .LBB8_332
; %bb.317:
	s_cmp_lt_i32 s29, 27
	s_mov_b64 s[20:21], -1
	s_cbranch_scc1 .LBB8_323
; %bb.318:
	v_cvt_u32_f64_e32 v2, v[0:1]
	s_cmp_gt_i32 s29, 27
	s_cbranch_scc0 .LBB8_320
; %bb.319:
	s_mov_b64 s[20:21], 0
	global_store_dword v[4:5], v2, off
.LBB8_320:
	s_andn2_b64 vcc, exec, s[20:21]
	s_cbranch_vccnz .LBB8_322
; %bb.321:
	global_store_short v[4:5], v2, off
.LBB8_322:
	s_mov_b64 s[20:21], 0
.LBB8_323:
	s_andn2_b64 vcc, exec, s[20:21]
	s_cbranch_vccnz .LBB8_331
; %bb.324:
	v_cvt_f32_f64_e32 v2, v[0:1]
	s_mov_b32 s20, 0x43800000
	v_mov_b32_e32 v6, 0x80
	v_and_b32_e32 v3, 0x7fffffff, v2
	v_cmp_gt_u32_e32 vcc, s20, v3
	s_and_saveexec_b64 s[20:21], vcc
	s_cbranch_execz .LBB8_330
; %bb.325:
	s_mov_b32 s24, 0x3bffffff
	v_cmp_lt_u32_e32 vcc, s24, v3
	s_mov_b64 s[24:25], 0
                                        ; implicit-def: $vgpr3
	s_and_saveexec_b64 s[26:27], vcc
	s_xor_b64 s[26:27], exec, s[26:27]
	s_cbranch_execz .LBB8_542
; %bb.326:
	v_bfe_u32 v3, v2, 20, 1
	s_mov_b32 s30, 0x487ffff
	v_add3_u32 v3, v2, v3, s30
	s_mov_b64 s[24:25], exec
	v_lshrrev_b32_e32 v3, 20, v3
	s_andn2_saveexec_b64 s[26:27], s[26:27]
	s_cbranch_execnz .LBB8_543
.LBB8_327:
	s_or_b64 exec, exec, s[26:27]
	v_mov_b32_e32 v6, 0
	s_and_saveexec_b64 s[26:27], s[24:25]
.LBB8_328:
	v_lshrrev_b32_e32 v2, 24, v2
	s_movk_i32 s24, 0x80
	v_and_or_b32 v6, v2, s24, v3
.LBB8_329:
	s_or_b64 exec, exec, s[26:27]
.LBB8_330:
	s_or_b64 exec, exec, s[20:21]
	global_store_byte v[4:5], v6, off
.LBB8_331:
	s_mov_b64 s[20:21], -1
.LBB8_332:
	s_mov_b64 s[24:25], 0
.LBB8_333:
	s_and_b64 vcc, exec, s[24:25]
	s_cbranch_vccz .LBB8_374
; %bb.334:
	s_cmp_gt_i32 s29, 22
	s_mov_b64 s[24:25], -1
	s_cbranch_scc0 .LBB8_366
; %bb.335:
	s_cmp_lt_i32 s29, 24
	s_mov_b64 s[20:21], -1
	s_cbranch_scc1 .LBB8_355
; %bb.336:
	s_cmp_gt_i32 s29, 24
	s_cbranch_scc0 .LBB8_344
; %bb.337:
	v_cvt_f32_f64_e32 v2, v[0:1]
	s_mov_b32 s20, 0x47800000
	v_mov_b32_e32 v6, 0x80
	v_and_b32_e32 v3, 0x7fffffff, v2
	v_cmp_gt_u32_e32 vcc, s20, v3
	s_and_saveexec_b64 s[20:21], vcc
	s_cbranch_execz .LBB8_343
; %bb.338:
	s_mov_b32 s24, 0x37ffffff
	v_cmp_lt_u32_e32 vcc, s24, v3
	s_mov_b64 s[24:25], 0
                                        ; implicit-def: $vgpr3
	s_and_saveexec_b64 s[26:27], vcc
	s_xor_b64 s[26:27], exec, s[26:27]
	s_cbranch_execz .LBB8_545
; %bb.339:
	v_bfe_u32 v3, v2, 21, 1
	s_mov_b32 s30, 0x88fffff
	v_add3_u32 v3, v2, v3, s30
	s_mov_b64 s[24:25], exec
	v_lshrrev_b32_e32 v3, 21, v3
	s_andn2_saveexec_b64 s[26:27], s[26:27]
	s_cbranch_execnz .LBB8_546
.LBB8_340:
	s_or_b64 exec, exec, s[26:27]
	v_mov_b32_e32 v6, 0
	s_and_saveexec_b64 s[26:27], s[24:25]
.LBB8_341:
	v_lshrrev_b32_e32 v2, 24, v2
	s_movk_i32 s24, 0x80
	v_and_or_b32 v6, v2, s24, v3
.LBB8_342:
	s_or_b64 exec, exec, s[26:27]
.LBB8_343:
	s_or_b64 exec, exec, s[20:21]
	s_mov_b64 s[20:21], 0
	global_store_byte v[4:5], v6, off
.LBB8_344:
	s_and_b64 vcc, exec, s[20:21]
	s_cbranch_vccz .LBB8_354
; %bb.345:
	v_cvt_f32_f64_e32 v2, v[0:1]
	s_mov_b32 s20, 0x43f00000
                                        ; implicit-def: $vgpr3
	v_and_b32_e32 v6, 0x7fffffff, v2
	v_cmp_gt_u32_e32 vcc, s20, v6
	s_and_saveexec_b64 s[20:21], vcc
	s_xor_b64 s[20:21], exec, s[20:21]
	s_cbranch_execz .LBB8_351
; %bb.346:
	s_mov_b32 s24, 0x3c7fffff
	v_cmp_lt_u32_e32 vcc, s24, v6
                                        ; implicit-def: $vgpr3
	s_and_saveexec_b64 s[24:25], vcc
	s_xor_b64 s[24:25], exec, s[24:25]
; %bb.347:
	v_bfe_u32 v3, v2, 20, 1
	s_mov_b32 s26, 0x407ffff
	v_add3_u32 v3, v2, v3, s26
	v_lshrrev_b32_e32 v6, 20, v3
	v_and_b32_e32 v3, 0xff00000, v3
	s_mov_b32 s26, 0x7f00000
	v_mov_b32_e32 v7, 0x7e
	v_cmp_ne_u32_e32 vcc, s26, v3
	v_cndmask_b32_e32 v3, v7, v6, vcc
; %bb.348:
	s_andn2_saveexec_b64 s[24:25], s[24:25]
; %bb.349:
	s_mov_b32 s26, 0x46800000
	v_add_f32_e64 v3, |v2|, s26
; %bb.350:
	s_or_b64 exec, exec, s[24:25]
                                        ; implicit-def: $vgpr6
.LBB8_351:
	s_andn2_saveexec_b64 s[20:21], s[20:21]
; %bb.352:
	s_mov_b32 s24, 0x7f800000
	v_mov_b32_e32 v3, 0x7e
	v_mov_b32_e32 v7, 0x7f
	v_cmp_lt_u32_e32 vcc, s24, v6
	v_cndmask_b32_e32 v3, v3, v7, vcc
; %bb.353:
	s_or_b64 exec, exec, s[20:21]
	v_lshrrev_b32_e32 v2, 24, v2
	s_movk_i32 s20, 0x80
	v_and_or_b32 v2, v2, s20, v3
	global_store_byte v[4:5], v2, off
.LBB8_354:
	s_mov_b64 s[20:21], 0
.LBB8_355:
	s_andn2_b64 vcc, exec, s[20:21]
	s_cbranch_vccnz .LBB8_365
; %bb.356:
	v_cvt_f32_f64_e32 v2, v[0:1]
	s_mov_b32 s20, 0x47800000
                                        ; implicit-def: $vgpr3
	v_and_b32_e32 v6, 0x7fffffff, v2
	v_cmp_gt_u32_e32 vcc, s20, v6
	s_and_saveexec_b64 s[20:21], vcc
	s_xor_b64 s[20:21], exec, s[20:21]
	s_cbranch_execz .LBB8_362
; %bb.357:
	s_mov_b32 s24, 0x387fffff
	v_cmp_lt_u32_e32 vcc, s24, v6
                                        ; implicit-def: $vgpr3
	s_and_saveexec_b64 s[24:25], vcc
	s_xor_b64 s[24:25], exec, s[24:25]
; %bb.358:
	v_bfe_u32 v3, v2, 21, 1
	s_mov_b32 s26, 0x80fffff
	v_add3_u32 v3, v2, v3, s26
	v_lshrrev_b32_e32 v3, 21, v3
; %bb.359:
	s_andn2_saveexec_b64 s[24:25], s[24:25]
; %bb.360:
	s_mov_b32 s26, 0x43000000
	v_add_f32_e64 v3, |v2|, s26
; %bb.361:
	s_or_b64 exec, exec, s[24:25]
                                        ; implicit-def: $vgpr6
.LBB8_362:
	s_andn2_saveexec_b64 s[20:21], s[20:21]
; %bb.363:
	s_mov_b32 s24, 0x7f800000
	v_mov_b32_e32 v3, 0x7c
	v_mov_b32_e32 v7, 0x7f
	v_cmp_lt_u32_e32 vcc, s24, v6
	v_cndmask_b32_e32 v3, v3, v7, vcc
; %bb.364:
	s_or_b64 exec, exec, s[20:21]
	v_lshrrev_b32_e32 v2, 24, v2
	s_movk_i32 s20, 0x80
	v_and_or_b32 v2, v2, s20, v3
	global_store_byte v[4:5], v2, off
.LBB8_365:
	s_mov_b64 s[24:25], 0
	s_mov_b64 s[20:21], -1
.LBB8_366:
	s_andn2_b64 vcc, exec, s[24:25]
	s_cbranch_vccnz .LBB8_374
; %bb.367:
	s_cmp_gt_i32 s29, 14
	s_mov_b64 s[24:25], -1
	s_cbranch_scc0 .LBB8_371
; %bb.368:
	s_cmp_eq_u32 s29, 15
	s_mov_b64 s[0:1], -1
	s_cbranch_scc0 .LBB8_370
; %bb.369:
	v_cvt_f32_f64_e32 v2, v[0:1]
	s_movk_i32 s0, 0x7fff
	v_mov_b32_e32 v3, 0x7fc0
	s_mov_b64 s[20:21], -1
	v_bfe_u32 v6, v2, 16, 1
	v_cmp_o_f32_e32 vcc, v2, v2
	v_add3_u32 v2, v2, v6, s0
	v_cndmask_b32_sdwa v2, v3, v2, vcc dst_sel:DWORD dst_unused:UNUSED_PAD src0_sel:DWORD src1_sel:WORD_1
	global_store_short v[4:5], v2, off
	s_mov_b64 s[0:1], 0
.LBB8_370:
	s_mov_b64 s[24:25], 0
.LBB8_371:
	s_and_b64 vcc, exec, s[24:25]
	s_cbranch_vccz .LBB8_374
; %bb.372:
	s_cmp_eq_u32 s29, 11
	s_mov_b64 s[0:1], -1
	s_cbranch_scc0 .LBB8_374
; %bb.373:
	v_cmp_neq_f64_e32 vcc, 0, v[0:1]
	s_mov_b64 s[0:1], 0
	s_mov_b64 s[20:21], -1
	v_cndmask_b32_e64 v2, 0, 1, vcc
	global_store_byte v[4:5], v2, off
.LBB8_374:
	s_mov_b64 s[24:25], 0
.LBB8_375:
	s_and_b64 vcc, exec, s[24:25]
	s_cbranch_vccz .LBB8_414
; %bb.376:
	s_and_b32 s24, 0xffff, s28
	s_cmp_lt_i32 s24, 5
	s_mov_b64 s[20:21], -1
	s_cbranch_scc1 .LBB8_397
; %bb.377:
	s_cmp_lt_i32 s24, 8
	s_cbranch_scc1 .LBB8_387
; %bb.378:
	s_cmp_lt_i32 s24, 9
	s_cbranch_scc1 .LBB8_384
; %bb.379:
	s_cmp_gt_i32 s24, 9
	s_cbranch_scc0 .LBB8_381
; %bb.380:
	v_mov_b32_e32 v2, 0
	v_mov_b32_e32 v3, v2
	s_mov_b64 s[20:21], 0
	global_store_dwordx4 v[4:5], v[0:3], off
.LBB8_381:
	s_andn2_b64 vcc, exec, s[20:21]
	s_cbranch_vccnz .LBB8_383
; %bb.382:
	v_cvt_f32_f64_e32 v2, v[0:1]
	v_mov_b32_e32 v3, 0
	global_store_dwordx2 v[4:5], v[2:3], off
.LBB8_383:
	s_mov_b64 s[20:21], 0
.LBB8_384:
	s_andn2_b64 vcc, exec, s[20:21]
	s_cbranch_vccnz .LBB8_386
; %bb.385:
	s_movk_i32 s20, 0x1ff
	v_and_or_b32 v2, v1, s20, v0
	v_cmp_ne_u32_e32 vcc, 0, v2
	v_cndmask_b32_e64 v2, 0, 1, vcc
	v_lshrrev_b32_e32 v3, 8, v1
	s_movk_i32 s20, 0xffe
	v_bfe_u32 v6, v1, 20, 11
	v_and_or_b32 v2, v3, s20, v2
	v_sub_u32_e32 v7, 0x3f1, v6
	v_or_b32_e32 v3, 0x1000, v2
	v_med3_i32 v7, v7, 0, 13
	v_lshrrev_b32_e32 v8, v7, v3
	v_lshlrev_b32_e32 v7, v7, v8
	v_cmp_ne_u32_e32 vcc, v7, v3
	v_cndmask_b32_e64 v3, 0, 1, vcc
	v_add_u32_e32 v6, 0xfffffc10, v6
	v_or_b32_e32 v3, v8, v3
	v_lshl_or_b32 v7, v6, 12, v2
	v_cmp_gt_i32_e32 vcc, 1, v6
	v_cndmask_b32_e32 v3, v7, v3, vcc
	v_and_b32_e32 v7, 7, v3
	v_cmp_lt_i32_e32 vcc, 5, v7
	v_cndmask_b32_e64 v8, 0, 1, vcc
	v_cmp_eq_u32_e32 vcc, 3, v7
	v_cndmask_b32_e64 v7, 0, 1, vcc
	v_or_b32_e32 v7, v7, v8
	v_lshrrev_b32_e32 v3, 2, v3
	v_add_u32_e32 v3, v3, v7
	v_mov_b32_e32 v7, 0x7c00
	v_cmp_gt_i32_e32 vcc, 31, v6
	v_cndmask_b32_e32 v3, v7, v3, vcc
	v_mov_b32_e32 v8, 0x7e00
	v_cmp_ne_u32_e32 vcc, 0, v2
	s_movk_i32 s20, 0x40f
	v_cndmask_b32_e32 v2, v7, v8, vcc
	v_cmp_eq_u32_e32 vcc, s20, v6
	v_cndmask_b32_e32 v2, v3, v2, vcc
	v_lshrrev_b32_e32 v3, 16, v1
	s_mov_b32 s20, 0x8000
	v_and_or_b32 v2, v3, s20, v2
	v_and_b32_e32 v2, 0xffff, v2
	global_store_dword v[4:5], v2, off
.LBB8_386:
	s_mov_b64 s[20:21], 0
.LBB8_387:
	s_andn2_b64 vcc, exec, s[20:21]
	s_cbranch_vccnz .LBB8_396
; %bb.388:
	s_cmp_lt_i32 s24, 6
	s_mov_b64 s[20:21], -1
	s_cbranch_scc1 .LBB8_394
; %bb.389:
	s_cmp_gt_i32 s24, 6
	s_cbranch_scc0 .LBB8_391
; %bb.390:
	s_mov_b64 s[20:21], 0
	global_store_dwordx2 v[4:5], v[0:1], off
.LBB8_391:
	s_andn2_b64 vcc, exec, s[20:21]
	s_cbranch_vccnz .LBB8_393
; %bb.392:
	v_cvt_f32_f64_e32 v2, v[0:1]
	global_store_dword v[4:5], v2, off
.LBB8_393:
	s_mov_b64 s[20:21], 0
.LBB8_394:
	s_andn2_b64 vcc, exec, s[20:21]
	s_cbranch_vccnz .LBB8_396
; %bb.395:
	s_movk_i32 s20, 0x1ff
	v_and_or_b32 v2, v1, s20, v0
	v_cmp_ne_u32_e32 vcc, 0, v2
	v_cndmask_b32_e64 v2, 0, 1, vcc
	v_lshrrev_b32_e32 v3, 8, v1
	s_movk_i32 s20, 0xffe
	v_bfe_u32 v6, v1, 20, 11
	v_and_or_b32 v2, v3, s20, v2
	v_sub_u32_e32 v7, 0x3f1, v6
	v_or_b32_e32 v3, 0x1000, v2
	v_med3_i32 v7, v7, 0, 13
	v_lshrrev_b32_e32 v8, v7, v3
	v_lshlrev_b32_e32 v7, v7, v8
	v_cmp_ne_u32_e32 vcc, v7, v3
	v_cndmask_b32_e64 v3, 0, 1, vcc
	v_add_u32_e32 v6, 0xfffffc10, v6
	v_or_b32_e32 v3, v8, v3
	v_lshl_or_b32 v7, v6, 12, v2
	v_cmp_gt_i32_e32 vcc, 1, v6
	v_cndmask_b32_e32 v3, v7, v3, vcc
	v_and_b32_e32 v7, 7, v3
	v_cmp_lt_i32_e32 vcc, 5, v7
	v_cndmask_b32_e64 v8, 0, 1, vcc
	v_cmp_eq_u32_e32 vcc, 3, v7
	v_cndmask_b32_e64 v7, 0, 1, vcc
	v_or_b32_e32 v7, v7, v8
	v_lshrrev_b32_e32 v3, 2, v3
	v_add_u32_e32 v3, v3, v7
	v_mov_b32_e32 v7, 0x7c00
	v_cmp_gt_i32_e32 vcc, 31, v6
	v_cndmask_b32_e32 v3, v7, v3, vcc
	v_mov_b32_e32 v8, 0x7e00
	v_cmp_ne_u32_e32 vcc, 0, v2
	s_movk_i32 s20, 0x40f
	v_cndmask_b32_e32 v2, v7, v8, vcc
	v_cmp_eq_u32_e32 vcc, s20, v6
	v_cndmask_b32_e32 v2, v3, v2, vcc
	v_lshrrev_b32_e32 v3, 16, v1
	s_mov_b32 s20, 0x8000
	v_and_or_b32 v2, v3, s20, v2
	global_store_short v[4:5], v2, off
.LBB8_396:
	s_mov_b64 s[20:21], 0
.LBB8_397:
	s_andn2_b64 vcc, exec, s[20:21]
	s_cbranch_vccnz .LBB8_413
; %bb.398:
	s_cmp_lt_i32 s24, 2
	s_mov_b64 s[20:21], -1
	s_cbranch_scc1 .LBB8_408
; %bb.399:
	s_cmp_lt_i32 s24, 3
	s_cbranch_scc1 .LBB8_405
; %bb.400:
	s_cmp_gt_i32 s24, 3
	s_cbranch_scc0 .LBB8_402
; %bb.401:
	v_trunc_f64_e32 v[2:3], v[0:1]
	s_movk_i32 s20, 0xffe0
	v_ldexp_f64 v[6:7], v[2:3], s20
	s_mov_b32 s20, 0
	s_mov_b32 s21, 0xc1f00000
	v_floor_f64_e32 v[6:7], v[6:7]
	v_fma_f64 v[2:3], v[6:7], s[20:21], v[2:3]
	v_cvt_i32_f64_e32 v7, v[6:7]
	s_mov_b64 s[20:21], 0
	v_cvt_u32_f64_e32 v6, v[2:3]
	global_store_dwordx2 v[4:5], v[6:7], off
.LBB8_402:
	s_andn2_b64 vcc, exec, s[20:21]
	s_cbranch_vccnz .LBB8_404
; %bb.403:
	v_cvt_i32_f64_e32 v2, v[0:1]
	global_store_dword v[4:5], v2, off
.LBB8_404:
	s_mov_b64 s[20:21], 0
.LBB8_405:
	s_andn2_b64 vcc, exec, s[20:21]
	s_cbranch_vccnz .LBB8_407
; %bb.406:
	v_cvt_i32_f64_e32 v2, v[0:1]
	global_store_short v[4:5], v2, off
.LBB8_407:
	s_mov_b64 s[20:21], 0
.LBB8_408:
	s_andn2_b64 vcc, exec, s[20:21]
	s_cbranch_vccnz .LBB8_413
; %bb.409:
	s_cmp_gt_i32 s24, 0
	s_mov_b64 s[20:21], -1
	s_cbranch_scc0 .LBB8_411
; %bb.410:
	v_cvt_i32_f64_e32 v2, v[0:1]
	s_mov_b64 s[20:21], 0
	global_store_byte v[4:5], v2, off
.LBB8_411:
	s_andn2_b64 vcc, exec, s[20:21]
	s_cbranch_vccnz .LBB8_413
; %bb.412:
	v_trunc_f64_e32 v[0:1], v[0:1]
	s_movk_i32 s20, 0xffe0
	v_ldexp_f64 v[2:3], v[0:1], s20
	s_mov_b32 s20, 0
	s_mov_b32 s21, 0xc1f00000
	v_floor_f64_e32 v[2:3], v[2:3]
	v_fma_f64 v[0:1], v[2:3], s[20:21], v[0:1]
	v_cvt_u32_f64_e32 v0, v[0:1]
	global_store_byte v[4:5], v0, off
.LBB8_413:
	s_mov_b64 s[20:21], -1
.LBB8_414:
	s_andn2_b64 vcc, exec, s[20:21]
	s_cbranch_vccnz .LBB8_416
; %bb.415:
	v_add_u32_e32 v26, 0x80, v26
	s_mov_b64 s[24:25], -1
	s_branch .LBB8_528
.LBB8_416:
	s_mov_b64 s[24:25], 0
                                        ; implicit-def: $vgpr26
	s_branch .LBB8_528
.LBB8_417:
	s_mov_b64 s[18:19], -1
                                        ; implicit-def: $vgpr2_vgpr3
.LBB8_418:
	s_mov_b64 s[20:21], 0
.LBB8_419:
	s_and_b64 vcc, exec, s[20:21]
	s_cbranch_vccz .LBB8_423
; %bb.420:
	s_cmp_eq_u32 s26, 29
	s_cbranch_scc0 .LBB8_422
; %bb.421:
	global_load_dwordx2 v[2:3], v[0:1], off
	s_mov_b64 s[0:1], -1
	s_mov_b64 s[18:19], 0
	s_mov_b64 s[20:21], 0
	s_waitcnt vmcnt(0)
	v_cvt_f64_u32_e32 v[3:4], v3
	v_cvt_f64_u32_e32 v[5:6], v2
	v_ldexp_f64 v[3:4], v[3:4], 32
	v_add_f64 v[2:3], v[3:4], v[5:6]
	s_branch .LBB8_424
.LBB8_422:
	s_mov_b64 s[18:19], -1
                                        ; implicit-def: $vgpr2_vgpr3
.LBB8_423:
	s_mov_b64 s[20:21], 0
.LBB8_424:
	s_and_b64 vcc, exec, s[20:21]
	s_cbranch_vccz .LBB8_444
; %bb.425:
	s_cmp_lt_i32 s26, 27
	s_cbranch_scc1 .LBB8_428
; %bb.426:
	s_cmp_gt_i32 s26, 27
	s_cbranch_scc0 .LBB8_429
; %bb.427:
	global_load_dword v2, v[0:1], off
	s_mov_b64 s[0:1], 0
	s_waitcnt vmcnt(0)
	v_cvt_f64_u32_e32 v[2:3], v2
	s_branch .LBB8_430
.LBB8_428:
	s_mov_b64 s[0:1], -1
                                        ; implicit-def: $vgpr2_vgpr3
	s_branch .LBB8_433
.LBB8_429:
	s_mov_b64 s[0:1], -1
                                        ; implicit-def: $vgpr2_vgpr3
.LBB8_430:
	s_andn2_b64 vcc, exec, s[0:1]
	s_cbranch_vccnz .LBB8_432
; %bb.431:
	global_load_ushort v2, v[0:1], off
	s_waitcnt vmcnt(0)
	v_cvt_f64_u32_e32 v[2:3], v2
.LBB8_432:
	s_mov_b64 s[0:1], 0
.LBB8_433:
	s_andn2_b64 vcc, exec, s[0:1]
	s_cbranch_vccnz .LBB8_443
; %bb.434:
	global_load_ubyte v4, v[0:1], off
	s_movk_i32 s0, 0x7f
	s_waitcnt vmcnt(0)
	v_cmp_lt_i16_e32 vcc, s0, v4
	s_mov_b64 s[0:1], 0
	s_and_saveexec_b64 s[20:21], vcc
	s_xor_b64 s[20:21], exec, s[20:21]
	s_cbranch_execz .LBB8_438
; %bb.435:
	s_movk_i32 s0, 0x80
	v_cmp_eq_u16_e32 vcc, s0, v4
	s_mov_b64 s[0:1], -1
	s_and_saveexec_b64 s[24:25], vcc
; %bb.436:
	s_xor_b64 s[0:1], exec, -1
; %bb.437:
	s_or_b64 exec, exec, s[24:25]
	s_and_b64 s[0:1], s[0:1], exec
.LBB8_438:
	s_or_saveexec_b64 s[20:21], s[20:21]
	v_bfrev_b32_e32 v2, 4
	v_mov_b32_e32 v3, 0x7ff80000
	s_xor_b64 exec, exec, s[20:21]
; %bb.439:
	v_cmp_ne_u16_e32 vcc, 0, v4
	v_mov_b32_e32 v2, 0
	s_andn2_b64 s[0:1], s[0:1], exec
	s_and_b64 s[24:25], vcc, exec
	v_mov_b32_e32 v3, 0
	s_or_b64 s[0:1], s[0:1], s[24:25]
; %bb.440:
	s_or_b64 exec, exec, s[20:21]
	s_and_saveexec_b64 s[20:21], s[0:1]
	s_cbranch_execz .LBB8_442
; %bb.441:
	v_and_b32_e32 v3, 0xffff, v4
	v_lshlrev_b32_e32 v2, 24, v4
	v_and_b32_e32 v4, 7, v3
	v_ffbh_u32_e32 v6, v4
	v_min_u32_e32 v6, 32, v6
	v_subrev_u32_e32 v7, 28, v6
	v_bfe_u32 v5, v3, 3, 4
	v_lshlrev_b32_e32 v3, v7, v3
	v_sub_u32_e32 v6, 29, v6
	v_and_b32_e32 v3, 7, v3
	v_cmp_eq_u32_e32 vcc, 0, v5
	v_cndmask_b32_e32 v5, v5, v6, vcc
	v_cndmask_b32_e32 v3, v4, v3, vcc
	v_mov_b32_e32 v4, 0x3b800000
	v_lshlrev_b32_e32 v3, 20, v3
	v_and_b32_e32 v2, 0x80000000, v2
	v_lshl_add_u32 v4, v5, 23, v4
	v_or3_b32 v2, v2, v4, v3
	v_cvt_f64_f32_e32 v[2:3], v2
.LBB8_442:
	s_or_b64 exec, exec, s[20:21]
.LBB8_443:
	s_mov_b64 s[0:1], -1
.LBB8_444:
	s_mov_b64 s[20:21], 0
.LBB8_445:
	s_and_b64 vcc, exec, s[20:21]
	s_cbranch_vccz .LBB8_478
; %bb.446:
	s_cmp_gt_i32 s26, 22
	s_cbranch_scc0 .LBB8_458
; %bb.447:
	s_cmp_lt_i32 s26, 24
	s_cbranch_scc1 .LBB8_459
; %bb.448:
	s_cmp_gt_i32 s26, 24
	s_cbranch_scc0 .LBB8_460
; %bb.449:
	global_load_ubyte v4, v[0:1], off
	s_movk_i32 s0, 0x7f
	s_waitcnt vmcnt(0)
	v_cmp_lt_i16_e32 vcc, s0, v4
	s_mov_b64 s[0:1], 0
	s_and_saveexec_b64 s[20:21], vcc
	s_xor_b64 s[20:21], exec, s[20:21]
	s_cbranch_execz .LBB8_453
; %bb.450:
	s_movk_i32 s0, 0x80
	v_cmp_eq_u16_e32 vcc, s0, v4
	s_mov_b64 s[0:1], -1
	s_and_saveexec_b64 s[24:25], vcc
; %bb.451:
	s_xor_b64 s[0:1], exec, -1
; %bb.452:
	s_or_b64 exec, exec, s[24:25]
	s_and_b64 s[0:1], s[0:1], exec
.LBB8_453:
	s_or_saveexec_b64 s[20:21], s[20:21]
	v_bfrev_b32_e32 v2, 4
	v_mov_b32_e32 v3, 0x7ff80000
	s_xor_b64 exec, exec, s[20:21]
; %bb.454:
	v_cmp_ne_u16_e32 vcc, 0, v4
	v_mov_b32_e32 v2, 0
	s_andn2_b64 s[0:1], s[0:1], exec
	s_and_b64 s[24:25], vcc, exec
	v_mov_b32_e32 v3, 0
	s_or_b64 s[0:1], s[0:1], s[24:25]
; %bb.455:
	s_or_b64 exec, exec, s[20:21]
	s_and_saveexec_b64 s[20:21], s[0:1]
	s_cbranch_execz .LBB8_457
; %bb.456:
	v_and_b32_e32 v3, 0xffff, v4
	v_lshlrev_b32_e32 v2, 24, v4
	v_and_b32_e32 v4, 3, v3
	v_ffbh_u32_e32 v6, v4
	v_min_u32_e32 v6, 32, v6
	v_subrev_u32_e32 v7, 29, v6
	v_bfe_u32 v5, v3, 2, 5
	v_lshlrev_b32_e32 v3, v7, v3
	v_sub_u32_e32 v6, 30, v6
	v_and_b32_e32 v3, 3, v3
	v_cmp_eq_u32_e32 vcc, 0, v5
	v_cndmask_b32_e32 v5, v5, v6, vcc
	v_cndmask_b32_e32 v3, v4, v3, vcc
	v_mov_b32_e32 v4, 0x37800000
	v_lshlrev_b32_e32 v3, 21, v3
	v_and_b32_e32 v2, 0x80000000, v2
	v_lshl_add_u32 v4, v5, 23, v4
	v_or3_b32 v2, v2, v4, v3
	v_cvt_f64_f32_e32 v[2:3], v2
.LBB8_457:
	s_or_b64 exec, exec, s[20:21]
	s_mov_b64 s[0:1], 0
	s_branch .LBB8_461
.LBB8_458:
	s_mov_b64 s[20:21], -1
                                        ; implicit-def: $vgpr2_vgpr3
	s_branch .LBB8_467
.LBB8_459:
	s_mov_b64 s[0:1], -1
                                        ; implicit-def: $vgpr2_vgpr3
	s_branch .LBB8_464
.LBB8_460:
	s_mov_b64 s[0:1], -1
                                        ; implicit-def: $vgpr2_vgpr3
.LBB8_461:
	s_and_b64 vcc, exec, s[0:1]
	s_cbranch_vccz .LBB8_463
; %bb.462:
	global_load_ubyte v2, v[0:1], off
	s_mov_b32 s0, 0x7f800000
	s_waitcnt vmcnt(0)
	v_lshlrev_b32_e32 v2, 24, v2
	v_and_b32_e32 v3, 0x7f000000, v2
	v_ffbh_u32_e32 v4, v3
	v_min_u32_e32 v4, 32, v4
	v_sub_u32_e64 v4, v4, 4 clamp
	v_lshlrev_b32_e32 v6, v4, v3
	v_lshlrev_b32_e32 v4, 23, v4
	v_lshrrev_b32_e32 v6, 4, v6
	v_add_u32_e32 v5, 0x1000000, v3
	v_sub_u32_e32 v4, v6, v4
	v_ashrrev_i32_e32 v5, 8, v5
	v_add_u32_e32 v4, 0x3c000000, v4
	v_and_or_b32 v4, v5, s0, v4
	v_cmp_ne_u32_e32 vcc, 0, v3
	v_cndmask_b32_e32 v3, 0, v4, vcc
	s_brev_b32 s0, 1
	v_and_or_b32 v2, v2, s0, v3
	v_cvt_f64_f32_e32 v[2:3], v2
.LBB8_463:
	s_mov_b64 s[0:1], 0
.LBB8_464:
	s_andn2_b64 vcc, exec, s[0:1]
	s_cbranch_vccnz .LBB8_466
; %bb.465:
	global_load_ubyte v2, v[0:1], off
	s_movk_i32 s0, 0x7f00
	s_brev_b32 s1, 16
	s_waitcnt vmcnt(0)
	v_lshlrev_b16_e32 v3, 8, v2
	v_lshlrev_b32_e32 v2, 25, v2
	v_lshrrev_b32_e32 v4, 4, v2
	v_and_or_b32 v5, v3, s0, 0.5
	v_or_b32_e32 v4, 0x70000000, v4
	v_add_f32_e32 v5, -0.5, v5
	v_mul_f32_e32 v4, 0x7800000, v4
	v_cmp_gt_u32_e32 vcc, s1, v2
	v_bfe_i32 v3, v3, 0, 16
	v_cndmask_b32_e32 v2, v4, v5, vcc
	s_brev_b32 s0, 1
	v_and_or_b32 v2, v3, s0, v2
	v_cvt_f64_f32_e32 v[2:3], v2
.LBB8_466:
	s_mov_b64 s[20:21], 0
	s_mov_b64 s[0:1], -1
.LBB8_467:
	s_andn2_b64 vcc, exec, s[20:21]
	s_cbranch_vccnz .LBB8_478
; %bb.468:
	s_cmp_gt_i32 s26, 14
	s_cbranch_scc0 .LBB8_471
; %bb.469:
	s_cmp_eq_u32 s26, 15
	s_cbranch_scc0 .LBB8_472
; %bb.470:
	global_load_ushort v2, v[0:1], off
	s_mov_b64 s[0:1], -1
	s_mov_b64 s[18:19], 0
	s_waitcnt vmcnt(0)
	v_lshlrev_b32_e32 v2, 16, v2
	v_cvt_f64_f32_e32 v[2:3], v2
	s_branch .LBB8_473
.LBB8_471:
	s_mov_b64 s[20:21], -1
                                        ; implicit-def: $vgpr2_vgpr3
	s_branch .LBB8_474
.LBB8_472:
	s_mov_b64 s[18:19], -1
                                        ; implicit-def: $vgpr2_vgpr3
.LBB8_473:
	s_mov_b64 s[20:21], 0
.LBB8_474:
	s_and_b64 vcc, exec, s[20:21]
	s_cbranch_vccz .LBB8_478
; %bb.475:
	s_cmp_eq_u32 s26, 11
	s_cbranch_scc0 .LBB8_477
; %bb.476:
	global_load_ubyte v3, v[0:1], off
	v_mov_b32_e32 v4, 0x3ff00000
	v_mov_b32_e32 v2, 0
	s_mov_b64 s[0:1], -1
	s_mov_b64 s[18:19], 0
	s_waitcnt vmcnt(0)
	v_cmp_ne_u16_e32 vcc, 0, v3
	v_cndmask_b32_e32 v3, 0, v4, vcc
	s_branch .LBB8_478
.LBB8_477:
	s_mov_b64 s[18:19], -1
                                        ; implicit-def: $vgpr2_vgpr3
.LBB8_478:
	s_branch .LBB8_273
.LBB8_479:
	s_cmp_lt_i32 s26, 5
	s_cbranch_scc1 .LBB8_484
; %bb.480:
	s_cmp_lt_i32 s26, 8
	s_cbranch_scc1 .LBB8_485
; %bb.481:
	;; [unrolled: 3-line block ×3, first 2 shown]
	s_cmp_gt_i32 s26, 9
	s_cbranch_scc0 .LBB8_487
; %bb.483:
	global_load_dwordx2 v[2:3], v[0:1], off
	s_mov_b64 s[0:1], 0
	s_branch .LBB8_488
.LBB8_484:
	s_mov_b64 s[0:1], -1
                                        ; implicit-def: $vgpr2_vgpr3
	s_branch .LBB8_506
.LBB8_485:
	s_mov_b64 s[0:1], -1
                                        ; implicit-def: $vgpr2_vgpr3
	s_branch .LBB8_494
.LBB8_486:
	s_mov_b64 s[0:1], -1
                                        ; implicit-def: $vgpr2_vgpr3
	s_branch .LBB8_491
.LBB8_487:
	s_mov_b64 s[0:1], -1
                                        ; implicit-def: $vgpr2_vgpr3
.LBB8_488:
	s_andn2_b64 vcc, exec, s[0:1]
	s_cbranch_vccnz .LBB8_490
; %bb.489:
	global_load_dword v2, v[0:1], off
	s_waitcnt vmcnt(0)
	v_cvt_f64_f32_e32 v[2:3], v2
.LBB8_490:
	s_mov_b64 s[0:1], 0
.LBB8_491:
	s_andn2_b64 vcc, exec, s[0:1]
	s_cbranch_vccnz .LBB8_493
; %bb.492:
	global_load_dword v2, v[0:1], off
	s_waitcnt vmcnt(0)
	v_cvt_f32_f16_e32 v2, v2
	v_cvt_f64_f32_e32 v[2:3], v2
.LBB8_493:
	s_mov_b64 s[0:1], 0
.LBB8_494:
	s_andn2_b64 vcc, exec, s[0:1]
	s_cbranch_vccnz .LBB8_505
; %bb.495:
	s_cmp_lt_i32 s26, 6
	s_cbranch_scc1 .LBB8_498
; %bb.496:
	s_cmp_gt_i32 s26, 6
	s_cbranch_scc0 .LBB8_499
; %bb.497:
	global_load_dwordx2 v[2:3], v[0:1], off
	s_mov_b64 s[0:1], 0
	s_branch .LBB8_500
.LBB8_498:
	s_mov_b64 s[0:1], -1
                                        ; implicit-def: $vgpr2_vgpr3
	s_branch .LBB8_503
.LBB8_499:
	s_mov_b64 s[0:1], -1
                                        ; implicit-def: $vgpr2_vgpr3
.LBB8_500:
	s_andn2_b64 vcc, exec, s[0:1]
	s_cbranch_vccnz .LBB8_502
; %bb.501:
	global_load_dword v2, v[0:1], off
	s_waitcnt vmcnt(0)
	v_cvt_f64_f32_e32 v[2:3], v2
.LBB8_502:
	s_mov_b64 s[0:1], 0
.LBB8_503:
	s_andn2_b64 vcc, exec, s[0:1]
	s_cbranch_vccnz .LBB8_505
; %bb.504:
	global_load_ushort v2, v[0:1], off
	s_waitcnt vmcnt(0)
	v_cvt_f32_f16_e32 v2, v2
	v_cvt_f64_f32_e32 v[2:3], v2
.LBB8_505:
	s_mov_b64 s[0:1], 0
.LBB8_506:
	s_andn2_b64 vcc, exec, s[0:1]
	s_cbranch_vccnz .LBB8_526
; %bb.507:
	s_cmp_lt_i32 s26, 2
	s_cbranch_scc1 .LBB8_511
; %bb.508:
	s_cmp_lt_i32 s26, 3
	s_cbranch_scc1 .LBB8_512
; %bb.509:
	s_cmp_gt_i32 s26, 3
	s_cbranch_scc0 .LBB8_513
; %bb.510:
	global_load_dwordx2 v[2:3], v[0:1], off
	s_mov_b64 s[0:1], 0
	s_waitcnt vmcnt(0)
	v_cvt_f64_i32_e32 v[3:4], v3
	v_cvt_f64_u32_e32 v[5:6], v2
	v_ldexp_f64 v[3:4], v[3:4], 32
	v_add_f64 v[2:3], v[3:4], v[5:6]
	s_branch .LBB8_514
.LBB8_511:
	s_mov_b64 s[0:1], -1
                                        ; implicit-def: $vgpr2_vgpr3
	s_branch .LBB8_520
.LBB8_512:
	s_mov_b64 s[0:1], -1
                                        ; implicit-def: $vgpr2_vgpr3
	s_branch .LBB8_517
.LBB8_513:
	s_mov_b64 s[0:1], -1
                                        ; implicit-def: $vgpr2_vgpr3
.LBB8_514:
	s_andn2_b64 vcc, exec, s[0:1]
	s_cbranch_vccnz .LBB8_516
; %bb.515:
	global_load_dword v2, v[0:1], off
	s_waitcnt vmcnt(0)
	v_cvt_f64_i32_e32 v[2:3], v2
.LBB8_516:
	s_mov_b64 s[0:1], 0
.LBB8_517:
	s_andn2_b64 vcc, exec, s[0:1]
	s_cbranch_vccnz .LBB8_519
; %bb.518:
	global_load_sshort v2, v[0:1], off
	s_waitcnt vmcnt(0)
	v_cvt_f64_i32_e32 v[2:3], v2
.LBB8_519:
	s_mov_b64 s[0:1], 0
.LBB8_520:
	s_andn2_b64 vcc, exec, s[0:1]
	s_cbranch_vccnz .LBB8_526
; %bb.521:
	s_cmp_gt_i32 s26, 0
	s_cbranch_scc0 .LBB8_523
; %bb.522:
	global_load_sbyte v2, v[0:1], off
	s_mov_b64 s[0:1], 0
	s_waitcnt vmcnt(0)
	v_cvt_f64_i32_e32 v[2:3], v2
	s_branch .LBB8_524
.LBB8_523:
	s_mov_b64 s[0:1], -1
                                        ; implicit-def: $vgpr2_vgpr3
.LBB8_524:
	s_andn2_b64 vcc, exec, s[0:1]
	s_cbranch_vccnz .LBB8_526
; %bb.525:
	global_load_ubyte v0, v[0:1], off
	s_waitcnt vmcnt(0)
	v_cvt_f64_u32_e32 v[2:3], v0
.LBB8_526:
	s_branch .LBB8_274
.LBB8_527:
	s_mov_b64 s[24:25], 0
                                        ; implicit-def: $vgpr26
	s_mov_b64 s[0:1], s[6:7]
.LBB8_528:
	s_andn2_b64 s[20:21], s[6:7], exec
	s_and_b64 s[0:1], s[0:1], exec
	s_or_b64 s[20:21], s[20:21], s[0:1]
	s_andn2_b64 s[0:1], s[14:15], exec
	s_and_b64 s[18:19], s[18:19], exec
	s_or_b64 s[18:19], s[0:1], s[18:19]
	s_orn2_b64 s[0:1], s[24:25], exec
.LBB8_529:
	s_or_b64 exec, exec, s[22:23]
	s_mov_b64 s[24:25], 0
	s_mov_b64 s[26:27], 0
	;; [unrolled: 1-line block ×3, first 2 shown]
                                        ; implicit-def: $vgpr0_vgpr1
                                        ; implicit-def: $vgpr2_vgpr3
	s_and_saveexec_b64 s[22:23], s[0:1]
	s_cbranch_execz .LBB8_882
; %bb.530:
	v_cmp_gt_i32_e32 vcc, s55, v26
	s_mov_b64 s[34:35], -1
	s_mov_b64 s[0:1], s[18:19]
	s_mov_b64 s[28:29], s[20:21]
	s_and_saveexec_b64 s[24:25], vcc
	s_cbranch_execz .LBB8_796
; %bb.531:
	v_mul_lo_u32 v0, v26, s3
	v_mov_b32_e32 v1, s11
	s_and_b32 s34, 0xffff, s54
	s_cmp_lt_i32 s34, 11
	s_waitcnt vmcnt(0)
	v_ashrrev_i32_e32 v2, 31, v0
	v_add_co_u32_e32 v0, vcc, s10, v0
	v_addc_co_u32_e32 v1, vcc, v1, v2, vcc
	s_cbranch_scc1 .LBB8_538
; %bb.532:
	s_cmp_gt_i32 s34, 25
	s_cbranch_scc0 .LBB8_539
; %bb.533:
	s_cmp_gt_i32 s34, 28
	s_cbranch_scc0 .LBB8_540
	;; [unrolled: 3-line block ×4, first 2 shown]
; %bb.536:
	s_cmp_eq_u32 s34, 46
	s_mov_b64 s[28:29], 0
	s_cbranch_scc0 .LBB8_547
; %bb.537:
	global_load_dword v2, v[0:1], off
	s_mov_b64 s[0:1], -1
	s_waitcnt vmcnt(0)
	v_lshlrev_b32_e32 v2, 16, v2
	v_cvt_f64_f32_e32 v[2:3], v2
	s_branch .LBB8_548
.LBB8_538:
	s_mov_b64 s[28:29], -1
	s_mov_b64 s[0:1], 0
                                        ; implicit-def: $vgpr2_vgpr3
	s_mov_b64 s[26:27], s[18:19]
	s_branch .LBB8_613
.LBB8_539:
	s_mov_b64 s[28:29], -1
	s_mov_b64 s[0:1], 0
	s_mov_b64 s[26:27], s[18:19]
                                        ; implicit-def: $vgpr2_vgpr3
	s_branch .LBB8_579
.LBB8_540:
	s_mov_b64 s[28:29], -1
	s_mov_b64 s[0:1], 0
	s_mov_b64 s[26:27], s[18:19]
                                        ; implicit-def: $vgpr2_vgpr3
	s_branch .LBB8_558
.LBB8_541:
	s_mov_b64 s[28:29], -1
	s_mov_b64 s[0:1], 0
	s_mov_b64 s[26:27], s[18:19]
                                        ; implicit-def: $vgpr2_vgpr3
	s_branch .LBB8_553
.LBB8_542:
	s_andn2_saveexec_b64 s[26:27], s[26:27]
	s_cbranch_execz .LBB8_327
.LBB8_543:
	s_mov_b32 s30, 0x46000000
	v_add_f32_e64 v3, |v2|, s30
	v_and_b32_e32 v3, 0xff, v3
	v_cmp_ne_u32_e32 vcc, 0, v3
	s_andn2_b64 s[24:25], s[24:25], exec
	s_and_b64 s[30:31], vcc, exec
	s_or_b64 s[24:25], s[24:25], s[30:31]
	s_or_b64 exec, exec, s[26:27]
	v_mov_b32_e32 v6, 0
	s_and_saveexec_b64 s[26:27], s[24:25]
	s_cbranch_execnz .LBB8_328
	s_branch .LBB8_329
.LBB8_544:
	s_mov_b64 s[28:29], -1
	s_mov_b64 s[0:1], 0
	s_mov_b64 s[26:27], s[18:19]
                                        ; implicit-def: $vgpr2_vgpr3
	s_branch .LBB8_548
.LBB8_545:
	s_andn2_saveexec_b64 s[26:27], s[26:27]
	s_cbranch_execz .LBB8_340
.LBB8_546:
	s_mov_b32 s30, 0x42800000
	v_add_f32_e64 v3, |v2|, s30
	v_and_b32_e32 v3, 0xff, v3
	v_cmp_ne_u32_e32 vcc, 0, v3
	s_andn2_b64 s[24:25], s[24:25], exec
	s_and_b64 s[30:31], vcc, exec
	s_or_b64 s[24:25], s[24:25], s[30:31]
	s_or_b64 exec, exec, s[26:27]
	v_mov_b32_e32 v6, 0
	s_and_saveexec_b64 s[26:27], s[24:25]
	s_cbranch_execnz .LBB8_341
	s_branch .LBB8_342
.LBB8_547:
	s_mov_b64 s[26:27], -1
                                        ; implicit-def: $vgpr2_vgpr3
	s_mov_b64 s[0:1], 0
.LBB8_548:
	s_and_b64 vcc, exec, s[28:29]
	s_cbranch_vccz .LBB8_552
; %bb.549:
	s_cmp_eq_u32 s34, 44
	s_cbranch_scc0 .LBB8_551
; %bb.550:
	global_load_ubyte v4, v[0:1], off
	s_movk_i32 s26, 0xff
	v_bfrev_b32_e32 v5, 4
	v_mov_b32_e32 v6, 0x7ff80000
	v_bfrev_b32_e32 v7, 28
	s_mov_b64 s[0:1], -1
	s_waitcnt vmcnt(0)
	v_lshlrev_b32_e32 v2, 23, v4
	v_cvt_f64_f32_e32 v[2:3], v2
	v_cmp_ne_u32_e32 vcc, s26, v4
	s_mov_b64 s[26:27], 0
	v_cndmask_b32_e32 v2, v5, v2, vcc
	v_cndmask_b32_e32 v3, v6, v3, vcc
	v_cmp_ne_u32_e32 vcc, 0, v4
	v_cndmask_b32_e32 v3, v7, v3, vcc
	v_cndmask_b32_e32 v2, 0, v2, vcc
	s_branch .LBB8_552
.LBB8_551:
	s_mov_b64 s[26:27], -1
                                        ; implicit-def: $vgpr2_vgpr3
.LBB8_552:
	s_mov_b64 s[28:29], 0
.LBB8_553:
	s_and_b64 vcc, exec, s[28:29]
	s_cbranch_vccz .LBB8_557
; %bb.554:
	s_cmp_eq_u32 s34, 29
	s_cbranch_scc0 .LBB8_556
; %bb.555:
	global_load_dwordx2 v[2:3], v[0:1], off
	s_mov_b64 s[0:1], -1
	s_mov_b64 s[26:27], 0
	s_mov_b64 s[28:29], 0
	s_waitcnt vmcnt(0)
	v_cvt_f64_u32_e32 v[3:4], v3
	v_cvt_f64_u32_e32 v[5:6], v2
	v_ldexp_f64 v[3:4], v[3:4], 32
	v_add_f64 v[2:3], v[3:4], v[5:6]
	s_branch .LBB8_558
.LBB8_556:
	s_mov_b64 s[26:27], -1
                                        ; implicit-def: $vgpr2_vgpr3
.LBB8_557:
	s_mov_b64 s[28:29], 0
.LBB8_558:
	s_and_b64 vcc, exec, s[28:29]
	s_cbranch_vccz .LBB8_578
; %bb.559:
	s_cmp_lt_i32 s34, 27
	s_cbranch_scc1 .LBB8_562
; %bb.560:
	s_cmp_gt_i32 s34, 27
	s_cbranch_scc0 .LBB8_563
; %bb.561:
	global_load_dword v2, v[0:1], off
	s_mov_b64 s[0:1], 0
	s_waitcnt vmcnt(0)
	v_cvt_f64_u32_e32 v[2:3], v2
	s_branch .LBB8_564
.LBB8_562:
	s_mov_b64 s[0:1], -1
                                        ; implicit-def: $vgpr2_vgpr3
	s_branch .LBB8_567
.LBB8_563:
	s_mov_b64 s[0:1], -1
                                        ; implicit-def: $vgpr2_vgpr3
.LBB8_564:
	s_andn2_b64 vcc, exec, s[0:1]
	s_cbranch_vccnz .LBB8_566
; %bb.565:
	global_load_ushort v2, v[0:1], off
	s_waitcnt vmcnt(0)
	v_cvt_f64_u32_e32 v[2:3], v2
.LBB8_566:
	s_mov_b64 s[0:1], 0
.LBB8_567:
	s_andn2_b64 vcc, exec, s[0:1]
	s_cbranch_vccnz .LBB8_577
; %bb.568:
	global_load_ubyte v4, v[0:1], off
	s_movk_i32 s0, 0x7f
	s_waitcnt vmcnt(0)
	v_cmp_lt_i16_e32 vcc, s0, v4
	s_mov_b64 s[0:1], 0
	s_and_saveexec_b64 s[28:29], vcc
	s_xor_b64 s[28:29], exec, s[28:29]
	s_cbranch_execz .LBB8_572
; %bb.569:
	s_movk_i32 s0, 0x80
	v_cmp_eq_u16_e32 vcc, s0, v4
	s_mov_b64 s[0:1], -1
	s_and_saveexec_b64 s[30:31], vcc
; %bb.570:
	s_xor_b64 s[0:1], exec, -1
; %bb.571:
	s_or_b64 exec, exec, s[30:31]
	s_and_b64 s[0:1], s[0:1], exec
.LBB8_572:
	s_or_saveexec_b64 s[28:29], s[28:29]
	v_bfrev_b32_e32 v2, 4
	v_mov_b32_e32 v3, 0x7ff80000
	s_xor_b64 exec, exec, s[28:29]
; %bb.573:
	v_cmp_ne_u16_e32 vcc, 0, v4
	v_mov_b32_e32 v2, 0
	s_andn2_b64 s[0:1], s[0:1], exec
	s_and_b64 s[30:31], vcc, exec
	v_mov_b32_e32 v3, 0
	s_or_b64 s[0:1], s[0:1], s[30:31]
; %bb.574:
	s_or_b64 exec, exec, s[28:29]
	s_and_saveexec_b64 s[28:29], s[0:1]
	s_cbranch_execz .LBB8_576
; %bb.575:
	v_and_b32_e32 v3, 0xffff, v4
	v_lshlrev_b32_e32 v2, 24, v4
	v_and_b32_e32 v4, 7, v3
	v_ffbh_u32_e32 v6, v4
	v_min_u32_e32 v6, 32, v6
	v_subrev_u32_e32 v7, 28, v6
	v_bfe_u32 v5, v3, 3, 4
	v_lshlrev_b32_e32 v3, v7, v3
	v_sub_u32_e32 v6, 29, v6
	v_and_b32_e32 v3, 7, v3
	v_cmp_eq_u32_e32 vcc, 0, v5
	v_cndmask_b32_e32 v5, v5, v6, vcc
	v_cndmask_b32_e32 v3, v4, v3, vcc
	v_mov_b32_e32 v4, 0x3b800000
	v_lshlrev_b32_e32 v3, 20, v3
	v_and_b32_e32 v2, 0x80000000, v2
	v_lshl_add_u32 v4, v5, 23, v4
	v_or3_b32 v2, v2, v4, v3
	v_cvt_f64_f32_e32 v[2:3], v2
.LBB8_576:
	s_or_b64 exec, exec, s[28:29]
.LBB8_577:
	s_mov_b64 s[0:1], -1
.LBB8_578:
	s_mov_b64 s[28:29], 0
.LBB8_579:
	s_and_b64 vcc, exec, s[28:29]
	s_cbranch_vccz .LBB8_612
; %bb.580:
	s_cmp_gt_i32 s34, 22
	s_cbranch_scc0 .LBB8_592
; %bb.581:
	s_cmp_lt_i32 s34, 24
	s_cbranch_scc1 .LBB8_593
; %bb.582:
	s_cmp_gt_i32 s34, 24
	s_cbranch_scc0 .LBB8_594
; %bb.583:
	global_load_ubyte v4, v[0:1], off
	s_movk_i32 s0, 0x7f
	s_waitcnt vmcnt(0)
	v_cmp_lt_i16_e32 vcc, s0, v4
	s_mov_b64 s[0:1], 0
	s_and_saveexec_b64 s[28:29], vcc
	s_xor_b64 s[28:29], exec, s[28:29]
	s_cbranch_execz .LBB8_587
; %bb.584:
	s_movk_i32 s0, 0x80
	v_cmp_eq_u16_e32 vcc, s0, v4
	s_mov_b64 s[0:1], -1
	s_and_saveexec_b64 s[30:31], vcc
; %bb.585:
	s_xor_b64 s[0:1], exec, -1
; %bb.586:
	s_or_b64 exec, exec, s[30:31]
	s_and_b64 s[0:1], s[0:1], exec
.LBB8_587:
	s_or_saveexec_b64 s[28:29], s[28:29]
	v_bfrev_b32_e32 v2, 4
	v_mov_b32_e32 v3, 0x7ff80000
	s_xor_b64 exec, exec, s[28:29]
; %bb.588:
	v_cmp_ne_u16_e32 vcc, 0, v4
	v_mov_b32_e32 v2, 0
	s_andn2_b64 s[0:1], s[0:1], exec
	s_and_b64 s[30:31], vcc, exec
	v_mov_b32_e32 v3, 0
	s_or_b64 s[0:1], s[0:1], s[30:31]
; %bb.589:
	s_or_b64 exec, exec, s[28:29]
	s_and_saveexec_b64 s[28:29], s[0:1]
	s_cbranch_execz .LBB8_591
; %bb.590:
	v_and_b32_e32 v3, 0xffff, v4
	v_lshlrev_b32_e32 v2, 24, v4
	v_and_b32_e32 v4, 3, v3
	v_ffbh_u32_e32 v6, v4
	v_min_u32_e32 v6, 32, v6
	v_subrev_u32_e32 v7, 29, v6
	v_bfe_u32 v5, v3, 2, 5
	v_lshlrev_b32_e32 v3, v7, v3
	v_sub_u32_e32 v6, 30, v6
	v_and_b32_e32 v3, 3, v3
	v_cmp_eq_u32_e32 vcc, 0, v5
	v_cndmask_b32_e32 v5, v5, v6, vcc
	v_cndmask_b32_e32 v3, v4, v3, vcc
	v_mov_b32_e32 v4, 0x37800000
	v_lshlrev_b32_e32 v3, 21, v3
	v_and_b32_e32 v2, 0x80000000, v2
	v_lshl_add_u32 v4, v5, 23, v4
	v_or3_b32 v2, v2, v4, v3
	v_cvt_f64_f32_e32 v[2:3], v2
.LBB8_591:
	s_or_b64 exec, exec, s[28:29]
	s_mov_b64 s[0:1], 0
	s_branch .LBB8_595
.LBB8_592:
	s_mov_b64 s[28:29], -1
                                        ; implicit-def: $vgpr2_vgpr3
	s_branch .LBB8_601
.LBB8_593:
	s_mov_b64 s[0:1], -1
                                        ; implicit-def: $vgpr2_vgpr3
	s_branch .LBB8_598
.LBB8_594:
	s_mov_b64 s[0:1], -1
                                        ; implicit-def: $vgpr2_vgpr3
.LBB8_595:
	s_and_b64 vcc, exec, s[0:1]
	s_cbranch_vccz .LBB8_597
; %bb.596:
	global_load_ubyte v2, v[0:1], off
	s_mov_b32 s0, 0x7f800000
	s_waitcnt vmcnt(0)
	v_lshlrev_b32_e32 v2, 24, v2
	v_and_b32_e32 v3, 0x7f000000, v2
	v_ffbh_u32_e32 v4, v3
	v_min_u32_e32 v4, 32, v4
	v_sub_u32_e64 v4, v4, 4 clamp
	v_lshlrev_b32_e32 v6, v4, v3
	v_lshlrev_b32_e32 v4, 23, v4
	v_lshrrev_b32_e32 v6, 4, v6
	v_add_u32_e32 v5, 0x1000000, v3
	v_sub_u32_e32 v4, v6, v4
	v_ashrrev_i32_e32 v5, 8, v5
	v_add_u32_e32 v4, 0x3c000000, v4
	v_and_or_b32 v4, v5, s0, v4
	v_cmp_ne_u32_e32 vcc, 0, v3
	v_cndmask_b32_e32 v3, 0, v4, vcc
	s_brev_b32 s0, 1
	v_and_or_b32 v2, v2, s0, v3
	v_cvt_f64_f32_e32 v[2:3], v2
.LBB8_597:
	s_mov_b64 s[0:1], 0
.LBB8_598:
	s_andn2_b64 vcc, exec, s[0:1]
	s_cbranch_vccnz .LBB8_600
; %bb.599:
	global_load_ubyte v2, v[0:1], off
	s_movk_i32 s0, 0x7f00
	s_brev_b32 s1, 16
	s_waitcnt vmcnt(0)
	v_lshlrev_b16_e32 v3, 8, v2
	v_lshlrev_b32_e32 v2, 25, v2
	v_lshrrev_b32_e32 v4, 4, v2
	v_and_or_b32 v5, v3, s0, 0.5
	v_or_b32_e32 v4, 0x70000000, v4
	v_add_f32_e32 v5, -0.5, v5
	v_mul_f32_e32 v4, 0x7800000, v4
	v_cmp_gt_u32_e32 vcc, s1, v2
	v_bfe_i32 v3, v3, 0, 16
	v_cndmask_b32_e32 v2, v4, v5, vcc
	s_brev_b32 s0, 1
	v_and_or_b32 v2, v3, s0, v2
	v_cvt_f64_f32_e32 v[2:3], v2
.LBB8_600:
	s_mov_b64 s[28:29], 0
	s_mov_b64 s[0:1], -1
.LBB8_601:
	s_andn2_b64 vcc, exec, s[28:29]
	s_cbranch_vccnz .LBB8_612
; %bb.602:
	s_cmp_gt_i32 s34, 14
	s_cbranch_scc0 .LBB8_605
; %bb.603:
	s_cmp_eq_u32 s34, 15
	s_cbranch_scc0 .LBB8_606
; %bb.604:
	global_load_ushort v2, v[0:1], off
	s_mov_b64 s[0:1], -1
	s_mov_b64 s[26:27], 0
	s_waitcnt vmcnt(0)
	v_lshlrev_b32_e32 v2, 16, v2
	v_cvt_f64_f32_e32 v[2:3], v2
	s_branch .LBB8_607
.LBB8_605:
	s_mov_b64 s[28:29], -1
                                        ; implicit-def: $vgpr2_vgpr3
	s_branch .LBB8_608
.LBB8_606:
	s_mov_b64 s[26:27], -1
                                        ; implicit-def: $vgpr2_vgpr3
.LBB8_607:
	s_mov_b64 s[28:29], 0
.LBB8_608:
	s_and_b64 vcc, exec, s[28:29]
	s_cbranch_vccz .LBB8_612
; %bb.609:
	s_cmp_eq_u32 s34, 11
	s_cbranch_scc0 .LBB8_611
; %bb.610:
	global_load_ubyte v3, v[0:1], off
	v_mov_b32_e32 v4, 0x3ff00000
	v_mov_b32_e32 v2, 0
	s_mov_b64 s[0:1], -1
	s_mov_b64 s[26:27], 0
	s_waitcnt vmcnt(0)
	v_cmp_ne_u16_e32 vcc, 0, v3
	v_cndmask_b32_e32 v3, 0, v4, vcc
	s_branch .LBB8_612
.LBB8_611:
	s_mov_b64 s[26:27], -1
                                        ; implicit-def: $vgpr2_vgpr3
.LBB8_612:
	s_mov_b64 s[28:29], 0
.LBB8_613:
	s_and_b64 vcc, exec, s[28:29]
	s_cbranch_vccz .LBB8_662
; %bb.614:
	s_cmp_lt_i32 s34, 5
	s_cbranch_scc1 .LBB8_619
; %bb.615:
	s_cmp_lt_i32 s34, 8
	s_cbranch_scc1 .LBB8_620
	;; [unrolled: 3-line block ×3, first 2 shown]
; %bb.617:
	s_cmp_gt_i32 s34, 9
	s_cbranch_scc0 .LBB8_622
; %bb.618:
	global_load_dwordx2 v[2:3], v[0:1], off
	s_mov_b64 s[0:1], 0
	s_branch .LBB8_623
.LBB8_619:
	s_mov_b64 s[0:1], -1
                                        ; implicit-def: $vgpr2_vgpr3
	s_branch .LBB8_641
.LBB8_620:
	s_mov_b64 s[0:1], -1
                                        ; implicit-def: $vgpr2_vgpr3
	s_branch .LBB8_629
.LBB8_621:
	s_mov_b64 s[0:1], -1
                                        ; implicit-def: $vgpr2_vgpr3
	s_branch .LBB8_626
.LBB8_622:
	s_mov_b64 s[0:1], -1
                                        ; implicit-def: $vgpr2_vgpr3
.LBB8_623:
	s_andn2_b64 vcc, exec, s[0:1]
	s_cbranch_vccnz .LBB8_625
; %bb.624:
	global_load_dword v2, v[0:1], off
	s_waitcnt vmcnt(0)
	v_cvt_f64_f32_e32 v[2:3], v2
.LBB8_625:
	s_mov_b64 s[0:1], 0
.LBB8_626:
	s_andn2_b64 vcc, exec, s[0:1]
	s_cbranch_vccnz .LBB8_628
; %bb.627:
	global_load_dword v2, v[0:1], off
	s_waitcnt vmcnt(0)
	v_cvt_f32_f16_e32 v2, v2
	v_cvt_f64_f32_e32 v[2:3], v2
.LBB8_628:
	s_mov_b64 s[0:1], 0
.LBB8_629:
	s_andn2_b64 vcc, exec, s[0:1]
	s_cbranch_vccnz .LBB8_640
; %bb.630:
	s_cmp_lt_i32 s34, 6
	s_cbranch_scc1 .LBB8_633
; %bb.631:
	s_cmp_gt_i32 s34, 6
	s_cbranch_scc0 .LBB8_634
; %bb.632:
	global_load_dwordx2 v[2:3], v[0:1], off
	s_mov_b64 s[0:1], 0
	s_branch .LBB8_635
.LBB8_633:
	s_mov_b64 s[0:1], -1
                                        ; implicit-def: $vgpr2_vgpr3
	s_branch .LBB8_638
.LBB8_634:
	s_mov_b64 s[0:1], -1
                                        ; implicit-def: $vgpr2_vgpr3
.LBB8_635:
	s_andn2_b64 vcc, exec, s[0:1]
	s_cbranch_vccnz .LBB8_637
; %bb.636:
	global_load_dword v2, v[0:1], off
	s_waitcnt vmcnt(0)
	v_cvt_f64_f32_e32 v[2:3], v2
.LBB8_637:
	s_mov_b64 s[0:1], 0
.LBB8_638:
	s_andn2_b64 vcc, exec, s[0:1]
	s_cbranch_vccnz .LBB8_640
; %bb.639:
	global_load_ushort v2, v[0:1], off
	s_waitcnt vmcnt(0)
	v_cvt_f32_f16_e32 v2, v2
	v_cvt_f64_f32_e32 v[2:3], v2
.LBB8_640:
	s_mov_b64 s[0:1], 0
.LBB8_641:
	s_andn2_b64 vcc, exec, s[0:1]
	s_cbranch_vccnz .LBB8_661
; %bb.642:
	s_cmp_lt_i32 s34, 2
	s_cbranch_scc1 .LBB8_646
; %bb.643:
	s_cmp_lt_i32 s34, 3
	s_cbranch_scc1 .LBB8_647
; %bb.644:
	s_cmp_gt_i32 s34, 3
	s_cbranch_scc0 .LBB8_648
; %bb.645:
	global_load_dwordx2 v[2:3], v[0:1], off
	s_mov_b64 s[0:1], 0
	s_waitcnt vmcnt(0)
	v_cvt_f64_i32_e32 v[3:4], v3
	v_cvt_f64_u32_e32 v[5:6], v2
	v_ldexp_f64 v[3:4], v[3:4], 32
	v_add_f64 v[2:3], v[3:4], v[5:6]
	s_branch .LBB8_649
.LBB8_646:
	s_mov_b64 s[0:1], -1
                                        ; implicit-def: $vgpr2_vgpr3
	s_branch .LBB8_655
.LBB8_647:
	s_mov_b64 s[0:1], -1
                                        ; implicit-def: $vgpr2_vgpr3
	s_branch .LBB8_652
.LBB8_648:
	s_mov_b64 s[0:1], -1
                                        ; implicit-def: $vgpr2_vgpr3
.LBB8_649:
	s_andn2_b64 vcc, exec, s[0:1]
	s_cbranch_vccnz .LBB8_651
; %bb.650:
	global_load_dword v2, v[0:1], off
	s_waitcnt vmcnt(0)
	v_cvt_f64_i32_e32 v[2:3], v2
.LBB8_651:
	s_mov_b64 s[0:1], 0
.LBB8_652:
	s_andn2_b64 vcc, exec, s[0:1]
	s_cbranch_vccnz .LBB8_654
; %bb.653:
	global_load_sshort v2, v[0:1], off
	s_waitcnt vmcnt(0)
	v_cvt_f64_i32_e32 v[2:3], v2
.LBB8_654:
	s_mov_b64 s[0:1], 0
.LBB8_655:
	s_andn2_b64 vcc, exec, s[0:1]
	s_cbranch_vccnz .LBB8_661
; %bb.656:
	s_cmp_gt_i32 s34, 0
	s_cbranch_scc0 .LBB8_658
; %bb.657:
	global_load_sbyte v2, v[0:1], off
	s_mov_b64 s[0:1], 0
	s_waitcnt vmcnt(0)
	v_cvt_f64_i32_e32 v[2:3], v2
	s_branch .LBB8_659
.LBB8_658:
	s_mov_b64 s[0:1], -1
                                        ; implicit-def: $vgpr2_vgpr3
.LBB8_659:
	s_andn2_b64 vcc, exec, s[0:1]
	s_cbranch_vccnz .LBB8_661
; %bb.660:
	global_load_ubyte v0, v[0:1], off
	s_waitcnt vmcnt(0)
	v_cvt_f64_u32_e32 v[2:3], v0
.LBB8_661:
	s_mov_b64 s[0:1], -1
.LBB8_662:
	s_andn2_b64 vcc, exec, s[0:1]
	s_cbranch_vccnz .LBB8_678
; %bb.663:
	s_waitcnt vmcnt(0)
	v_cmp_neq_f64_e32 vcc, 0, v[2:3]
	v_mov_b32_e32 v0, 0
	v_mov_b32_e32 v1, 0x7ff00000
	s_and_saveexec_b64 s[28:29], vcc
	s_cbranch_execz .LBB8_671
; %bb.664:
	v_cmp_ngt_f64_e32 vcc, 0, v[2:3]
	v_mov_b32_e32 v0, 0
	v_mov_b32_e32 v1, 0x7ff80000
	s_and_saveexec_b64 s[30:31], vcc
	s_cbranch_execz .LBB8_670
; %bb.665:
	v_cmp_ge_f64_e32 vcc, 2.0, v[2:3]
                                        ; implicit-def: $vgpr0_vgpr1
	s_and_saveexec_b64 s[0:1], vcc
	s_xor_b64 s[34:35], exec, s[0:1]
	s_cbranch_execz .LBB8_667
; %bb.666:
	v_fma_f64 v[0:1], v[2:3], 0.5, -2.0
	v_mov_b32_e32 v4, 0x977da589
	v_mov_b32_e32 v5, 0x3c833362
	s_mov_b32 s1, 0xbc545cb7
	s_mov_b32 s0, 0x2134d0ef
	s_mov_b32 s36, 0x7a946abc
	s_mov_b32 s37, 0xbdb2fc95
	s_mov_b32 s38, 0xd7f4df2e
	v_fma_f64 v[4:5], v[0:1], s[0:1], v[4:5]
	s_mov_b32 s1, 0x3c545cb7
	s_mov_b32 s39, 0x3fc7474d
	s_mov_b32 s42, 0x16291751
	s_mov_b32 s44, 0x1f15eb52
	s_mov_b32 s43, 0x3fcc71c0
	s_mov_b32 s45, 0xbf42e2fd
	s_mov_b32 s48, 0x9b27acf1
	v_fma_f64 v[6:7], v[0:1], v[4:5], s[0:1]
	s_mov_b32 s0, 0x721ebbb4
	s_mov_b32 s1, 0xbcb184eb
	;; [unrolled: 1-line block ×7, first 2 shown]
	v_add_f64 v[6:7], v[6:7], s[0:1]
	s_mov_b32 s0, 0x93f65eba
	s_mov_b32 s1, 0x3cdee6d8
	;; [unrolled: 1-line block ×7, first 2 shown]
	v_fma_f64 v[4:5], v[0:1], v[6:7], -v[4:5]
	s_mov_b32 s59, 0x3ff71547
	s_mov_b32 s52, 0x342d06ea
	;; [unrolled: 1-line block ×3, first 2 shown]
	v_add_f64 v[4:5], v[4:5], s[0:1]
	s_mov_b32 s0, 0xc297fbeb
	s_mov_b32 s1, 0xbd0a5022
	v_fma_f64 v[6:7], v[0:1], v[4:5], -v[6:7]
	v_add_f64 v[6:7], v[6:7], s[0:1]
	s_mov_b32 s0, 0x4b262627
	s_mov_b32 s1, 0x3d359b46
	v_fma_f64 v[4:5], v[0:1], v[6:7], -v[4:5]
	;; [unrolled: 4-line block ×4, first 2 shown]
	v_add_f64 v[8:9], v[4:5], s[0:1]
	v_mul_f64 v[4:5], v[2:3], 0.5
	s_mov_b32 s1, 0x3fe55555
	s_mov_b32 s0, 0x55555555
	v_fma_f64 v[6:7], v[0:1], v[8:9], -v[6:7]
	v_frexp_mant_f64_e32 v[10:11], v[4:5]
	v_frexp_exp_i32_f64_e32 v27, v[4:5]
	v_add_f64 v[6:7], v[6:7], s[36:37]
	v_cmp_gt_f64_e32 vcc, s[0:1], v[10:11]
	s_mov_b32 s36, 0xcc743c10
	s_mov_b32 s37, 0x3dda98be
	;; [unrolled: 1-line block ×3, first 2 shown]
	v_fma_f64 v[8:9], v[0:1], v[6:7], -v[8:9]
	v_cndmask_b32_e64 v12, 0, 1, vcc
	v_ldexp_f64 v[10:11], v[10:11], v12
	v_subbrev_co_u32_e32 v27, vcc, 0, v27, vcc
	v_cvt_f64_i32_e32 v[27:28], v27
	v_add_f64 v[8:9], v[8:9], s[36:37]
	s_mov_b32 s36, 0x13ae9556
	v_add_f64 v[12:13], v[10:11], 1.0
	s_mov_b32 s37, 0xbe01d4fe
	v_add_f64 v[18:19], v[10:11], -1.0
	v_fma_f64 v[6:7], v[0:1], v[8:9], -v[6:7]
	v_rcp_f64_e32 v[14:15], v[12:13]
	v_add_f64 v[20:21], v[12:13], -1.0
	v_add_f64 v[6:7], v[6:7], s[36:37]
	s_mov_b32 s36, 0xa454cb34
	s_mov_b32 s37, 0x3e26d903
	v_add_f64 v[10:11], v[10:11], -v[20:21]
	v_fma_f64 v[8:9], v[0:1], v[6:7], -v[8:9]
	v_fma_f64 v[16:17], -v[12:13], v[14:15], 1.0
	v_add_f64 v[8:9], v[8:9], s[36:37]
	s_mov_b32 s36, 0x8c0b30ab
	v_fma_f64 v[14:15], v[16:17], v[14:15], v[14:15]
	s_mov_b32 s37, 0xbe4beaf6
	v_fma_f64 v[6:7], v[0:1], v[8:9], -v[6:7]
	v_fma_f64 v[16:17], -v[12:13], v[14:15], 1.0
	v_fma_f64 v[14:15], v[16:17], v[14:15], v[14:15]
	v_add_f64 v[16:17], v[6:7], s[36:37]
	s_mov_b32 s36, 0x9d4d6435
	s_mov_b32 s37, 0x3e703b76
	v_mul_f64 v[6:7], v[18:19], v[14:15]
	v_fma_f64 v[8:9], v[0:1], v[16:17], -v[8:9]
	v_mul_f64 v[22:23], v[12:13], v[6:7]
	v_add_f64 v[8:9], v[8:9], s[36:37]
	s_mov_b32 s36, 0x8f227f8d
	s_mov_b32 s37, 0xbe91ec63
	v_fma_f64 v[12:13], v[6:7], v[12:13], -v[22:23]
	v_fma_f64 v[16:17], v[0:1], v[8:9], -v[16:17]
	v_fma_f64 v[10:11], v[6:7], v[10:11], v[12:13]
	v_add_f64 v[12:13], v[16:17], s[36:37]
	s_mov_b32 s36, 0x978cf4ac
	s_mov_b32 s37, 0x3eb2bf24
	v_add_f64 v[16:17], v[22:23], v[10:11]
	v_fma_f64 v[8:9], v[0:1], v[12:13], -v[8:9]
	v_add_f64 v[20:21], v[18:19], -v[16:17]
	v_add_f64 v[8:9], v[8:9], s[36:37]
	v_add_f64 v[22:23], v[16:17], -v[22:23]
	s_mov_b32 s36, 0xcba56427
	s_mov_b32 s37, 0xbed2866f
	v_add_f64 v[18:19], v[18:19], -v[20:21]
	v_fma_f64 v[12:13], v[0:1], v[8:9], -v[12:13]
	v_add_f64 v[10:11], v[22:23], -v[10:11]
	v_mov_b32_e32 v22, 0xc384c2aa
	v_mov_b32_e32 v23, 0x3d27fb0a
	v_add_f64 v[16:17], v[18:19], -v[16:17]
	v_add_f64 v[12:13], v[12:13], s[36:37]
	s_mov_b32 s36, 0xbe9a2859
	s_mov_b32 s37, 0x3ef13f58
	v_add_f64 v[10:11], v[10:11], v[16:17]
	v_fma_f64 v[8:9], v[0:1], v[12:13], -v[8:9]
	v_add_f64 v[10:11], v[20:21], v[10:11]
	v_add_f64 v[16:17], v[8:9], s[36:37]
	s_mov_b32 s36, 0x59c41d5a
	s_mov_b32 s37, 0xbf0e2b26
	v_mul_f64 v[8:9], v[14:15], v[10:11]
	v_fma_f64 v[12:13], v[0:1], v[16:17], -v[12:13]
	v_mov_b32_e32 v14, 0x6b47b09a
	v_mov_b32_e32 v15, 0x3fc38538
	v_add_f64 v[10:11], v[6:7], v[8:9]
	v_add_f64 v[18:19], v[12:13], s[36:37]
	s_mov_b32 s36, 0xbf559e2b
	s_mov_b32 s37, 0x3fc3ab76
	v_mul_f64 v[12:13], v[10:11], v[10:11]
	v_fma_f64 v[16:17], v[0:1], v[18:19], -v[16:17]
	v_add_f64 v[6:7], v[10:11], -v[6:7]
	v_fma_f64 v[14:15], v[12:13], s[36:37], v[14:15]
	s_mov_b32 s36, 0x74107cab
	s_mov_b32 s37, 0x3f28b51b
	v_add_f64 v[16:17], v[16:17], s[36:37]
	v_mul_f64 v[24:25], v[10:11], v[12:13]
	s_mov_b32 s37, 0x3fe62e42
	s_mov_b32 s36, 0xfefa39ef
	v_mul_f64 v[31:32], v[27:28], s[36:37]
	v_fma_f64 v[14:15], v[12:13], v[14:15], s[38:39]
	v_add_f64 v[8:9], v[8:9], -v[6:7]
	s_mov_b32 s39, 0x3c7abc9e
	v_fma_f64 v[18:19], v[0:1], v[16:17], -v[18:19]
	s_mov_b32 s38, 0x3b39803f
	v_fma_f64 v[14:15], v[12:13], v[14:15], s[42:43]
	s_mov_b32 s42, 0xf3dde3dd
	s_mov_b32 s43, 0x3f859961
	v_add_f64 v[18:19], v[18:19], s[44:45]
	v_ldexp_f64 v[8:9], v[8:9], 1
	s_mov_b32 s44, 0xf121b6f0
	s_mov_b32 s45, 0xbf984e9e
	v_fma_f64 v[20:21], v[12:13], v[14:15], s[48:49]
	v_fma_f64 v[14:15], v[2:3], v[2:3], -2.0
	s_mov_b32 s48, 0xcea8a32d
	v_fma_f64 v[16:17], v[0:1], v[18:19], -v[16:17]
	s_mov_b32 s49, 0x3fa93e8a
	v_fma_f64 v[20:21], v[12:13], v[20:21], s[40:41]
	v_fma_f64 v[22:23], v[14:15], s[56:57], v[22:23]
	s_mov_b32 s57, 0xbca3cee1
	v_add_f64 v[16:17], v[16:17], s[50:51]
	s_mov_b32 s50, 0x47512144
	s_mov_b32 s51, 0x3da6c25c
	;; [unrolled: 1-line block ×4, first 2 shown]
	v_fma_f64 v[12:13], v[12:13], v[20:21], s[0:1]
	v_ldexp_f64 v[20:21], v[10:11], 1
	v_fma_f64 v[29:30], v[14:15], v[22:23], s[56:57]
	v_fma_f64 v[18:19], v[0:1], v[16:17], -v[18:19]
	s_mov_b32 s0, 0x77ac88c0
	s_mov_b32 s1, 0x3fc5f7ac
	v_mul_f64 v[12:13], v[24:25], v[12:13]
	v_mul_f64 v[24:25], v[2:3], s[58:59]
	v_add_f64 v[18:19], v[18:19], s[46:47]
	s_mov_b32 s46, 0x67e58a13
	s_mov_b32 s47, 0x3e205c13
	v_add_f64 v[10:11], v[20:21], v[12:13]
	v_rndne_f64_e32 v[6:7], v[24:25]
	v_add_f64 v[24:25], v[29:30], s[50:51]
	v_fma_f64 v[16:17], v[0:1], v[18:19], -v[16:17]
	v_fma_f64 v[29:30], v[27:28], s[36:37], -v[31:32]
	s_mov_b32 s37, 0xbfe62e42
	v_add_f64 v[20:21], v[10:11], -v[20:21]
	v_fma_f64 v[2:3], v[6:7], s[36:37], v[2:3]
	v_fma_f64 v[22:23], v[14:15], v[24:25], -v[22:23]
	v_add_f64 v[16:17], v[16:17], s[42:43]
	v_fma_f64 v[27:28], v[27:28], s[38:39], v[29:30]
	s_mov_b32 s39, 0xbc7abc9e
	s_mov_b32 s36, 0x6a5dcb37
	;; [unrolled: 1-line block ×3, first 2 shown]
	v_add_f64 v[12:13], v[12:13], -v[20:21]
	v_fma_f64 v[2:3], v[6:7], s[38:39], v[2:3]
	v_mov_b32_e32 v20, 0xfca7ab0c
	v_fma_f64 v[18:19], v[0:1], v[16:17], -v[18:19]
	v_mov_b32_e32 v21, 0x3e928af3
	s_mov_b32 s38, 0x623fde64
	s_mov_b32 s39, 0x3ec71dee
	;; [unrolled: 1-line block ×3, first 2 shown]
	v_add_f64 v[8:9], v[8:9], v[12:13]
	v_fma_f64 v[20:21], v[2:3], s[36:37], v[20:21]
	s_mov_b32 s36, 0xe7f95efc
	v_add_f64 v[12:13], v[18:19], s[44:45]
	v_add_f64 v[18:19], v[22:23], s[46:47]
	;; [unrolled: 1-line block ×3, first 2 shown]
	s_mov_b32 s37, 0x3e9102bc
	s_mov_b32 s43, 0x3efa0199
	v_add_f64 v[29:30], v[10:11], v[8:9]
	v_fma_f64 v[20:21], v[2:3], v[20:21], s[38:39]
	s_mov_b32 s38, 0xfe8cfca0
	v_fma_f64 v[16:17], v[0:1], v[12:13], -v[16:17]
	v_fma_f64 v[24:25], v[14:15], v[18:19], -v[24:25]
	s_mov_b32 s39, 0x3ef7f900
	v_add_f64 v[31:32], v[22:23], -v[31:32]
	v_add_f64 v[33:34], v[22:23], v[29:30]
	v_fma_f64 v[20:21], v[2:3], v[20:21], s[42:43]
	v_add_f64 v[10:11], v[29:30], -v[10:11]
	v_add_f64 v[16:17], v[16:17], s[48:49]
	v_add_f64 v[24:25], v[24:25], s[36:37]
	s_mov_b32 s36, 0x14761f6e
	s_mov_b32 s37, 0x3f2a01a0
	;; [unrolled: 1-line block ×3, first 2 shown]
	v_add_f64 v[35:36], v[33:34], -v[22:23]
	v_fma_f64 v[20:21], v[2:3], v[20:21], s[36:37]
	s_mov_b32 s43, 0x3f56c16c
	v_fma_f64 v[12:13], v[0:1], v[16:17], -v[12:13]
	v_fma_f64 v[18:19], v[14:15], v[24:25], -v[18:19]
	v_add_f64 v[27:28], v[27:28], -v[31:32]
	v_add_f64 v[8:9], v[8:9], -v[10:11]
	s_mov_b32 s36, 0x11122322
	v_add_f64 v[37:38], v[33:34], -v[35:36]
	v_fma_f64 v[20:21], v[2:3], v[20:21], s[42:43]
	v_add_f64 v[10:11], v[29:30], -v[35:36]
	v_add_f64 v[12:13], v[12:13], s[52:53]
	v_add_f64 v[18:19], v[18:19], s[38:39]
	s_mov_b32 s37, 0x3f811111
	s_mov_b32 s38, 0x75633d73
	;; [unrolled: 1-line block ×3, first 2 shown]
	v_add_f64 v[22:23], v[22:23], -v[37:38]
	v_fma_f64 v[20:21], v[2:3], v[20:21], s[36:37]
	v_add_f64 v[29:30], v[27:28], v[8:9]
	v_fma_f64 v[16:17], v[0:1], v[12:13], -v[16:17]
	v_fma_f64 v[24:25], v[14:15], v[18:19], -v[24:25]
	s_mov_b32 s36, 0x55555511
	s_mov_b32 s37, 0x3fc55555
	v_add_f64 v[10:11], v[10:11], v[22:23]
	v_add_f64 v[16:17], v[16:17], s[0:1]
	;; [unrolled: 1-line block ×3, first 2 shown]
	s_mov_b32 s0, 0x555502a1
	s_mov_b32 s1, 0x3fa55555
	v_fma_f64 v[20:21], v[2:3], v[20:21], s[0:1]
	v_add_f64 v[24:25], v[29:30], -v[27:28]
	v_add_f64 v[10:11], v[29:30], v[10:11]
	s_mov_b32 s0, 0x554a9085
	v_fma_f64 v[12:13], v[0:1], v[16:17], -v[12:13]
	v_fma_f64 v[18:19], v[14:15], v[22:23], -v[18:19]
	s_mov_b32 s1, 0x3fa26bf6
	v_fma_f64 v[20:21], v[2:3], v[20:21], s[36:37]
	v_add_f64 v[29:30], v[29:30], -v[24:25]
	v_add_f64 v[31:32], v[33:34], v[10:11]
	v_add_f64 v[8:9], v[8:9], -v[24:25]
	v_add_f64 v[12:13], v[12:13], s[40:41]
	v_add_f64 v[18:19], v[18:19], s[0:1]
	s_mov_b32 s0, 11
	s_mov_b32 s1, 0x3fe00000
	v_fma_f64 v[20:21], v[2:3], v[20:21], s[0:1]
	v_add_f64 v[24:25], v[27:28], -v[29:30]
	v_add_f64 v[27:28], v[31:32], -v[33:34]
	s_mov_b32 s0, 0x9035a22a
	v_fma_f64 v[0:1], v[0:1], v[12:13], -v[16:17]
	v_fma_f64 v[12:13], v[14:15], v[18:19], -v[22:23]
	s_mov_b32 s1, 0x3fe5a84e
	s_mov_b32 s36, 0x81213db9
	v_fma_f64 v[20:21], v[2:3], v[20:21], 1.0
	s_mov_b32 s37, 0x3fd608d8
	v_add_f64 v[8:9], v[8:9], v[24:25]
	v_add_f64 v[10:11], v[10:11], -v[27:28]
	v_add_f64 v[0:1], v[0:1], s[0:1]
	v_add_f64 v[12:13], v[12:13], s[36:37]
	s_mov_b32 s0, 0xe9d2f61f
	s_mov_b32 s36, 0
	v_fma_f64 v[2:3], v[2:3], v[20:21], 1.0
	s_mov_b32 s1, 0xbfe12166
	s_mov_b32 s37, 0x7ff00000
	v_add_f64 v[8:9], v[8:9], v[10:11]
	v_add_f64 v[0:1], v[0:1], -v[16:17]
	v_fma_f64 v[10:11], v[14:15], v[12:13], -v[18:19]
	v_cvt_i32_f64_e32 v12, v[6:7]
	v_cmp_neq_f64_e32 vcc, s[36:37], v[4:5]
	v_ldexp_f64 v[2:3], v[2:3], v12
	v_add_f64 v[6:7], v[31:32], v[8:9]
	v_mul_f64 v[0:1], v[0:1], 0.5
	v_add_f64 v[8:9], v[10:11], s[0:1]
	v_cmp_neq_f64_e64 s[0:1], 0, v[4:5]
	v_mov_b32_e32 v10, 0x7ff00000
	v_cndmask_b32_e32 v7, v10, v7, vcc
	v_mul_f64 v[0:1], v[2:3], v[0:1]
	v_mov_b32_e32 v10, 0xfff00000
	s_and_b64 vcc, s[0:1], vcc
	v_cndmask_b32_e64 v7, v10, v7, s[0:1]
	v_cndmask_b32_e32 v6, 0, v6, vcc
	v_add_f64 v[4:5], v[8:9], -v[18:19]
	v_mul_f64 v[0:1], v[6:7], v[0:1]
	v_fma_f64 v[0:1], v[4:5], 0.5, -v[0:1]
	v_mul_f64 v[0:1], v[2:3], v[0:1]
                                        ; implicit-def: $vgpr2_vgpr3
.LBB8_667:
	s_andn2_saveexec_b64 s[0:1], s[34:35]
	s_cbranch_execz .LBB8_669
; %bb.668:
	s_mov_b32 s34, 0
	s_mov_b32 s35, 0x40200000
	v_div_scale_f64 v[0:1], s[36:37], v[2:3], v[2:3], s[34:35]
	v_rcp_f64_e32 v[4:5], v[0:1]
	v_fma_f64 v[6:7], -v[0:1], v[4:5], 1.0
	v_fma_f64 v[4:5], v[4:5], v[6:7], v[4:5]
	v_div_scale_f64 v[6:7], vcc, s[34:35], v[2:3], s[34:35]
	v_fma_f64 v[8:9], -v[0:1], v[4:5], 1.0
	v_fma_f64 v[4:5], v[4:5], v[8:9], v[4:5]
	v_mul_f64 v[8:9], v[6:7], v[4:5]
	v_fma_f64 v[0:1], -v[0:1], v[8:9], v[6:7]
	v_div_fmas_f64 v[0:1], v[0:1], v[4:5], v[8:9]
	v_mov_b32_e32 v4, 0x93812603
	v_mov_b32_e32 v5, 0xbc72fecc
	;; [unrolled: 1-line block ×3, first 2 shown]
	v_div_fixup_f64 v[0:1], v[0:1], v[2:3], s[34:35]
	s_mov_b32 s35, 0x3c5871a5
	s_mov_b32 s34, 0xcf8c9ee1
	v_add_f64 v[0:1], v[0:1], -2.0
	v_fma_f64 v[4:5], v[0:1], s[34:35], v[4:5]
	s_mov_b32 s35, 0xbc5871a5
	v_fma_f64 v[6:7], v[0:1], v[4:5], s[34:35]
	s_mov_b32 s34, 0x41a8cdf4
	s_mov_b32 s35, 0x3c8e092e
	v_add_f64 v[6:7], v[6:7], s[34:35]
	s_mov_b32 s34, 0x74d77641
	s_mov_b32 s35, 0xbca82f94
	v_fma_f64 v[4:5], v[0:1], v[6:7], -v[4:5]
	v_add_f64 v[4:5], v[4:5], s[34:35]
	s_mov_b32 s34, 0x6b94785b
	s_mov_b32 s35, 0x3cc3dbf9
	v_fma_f64 v[6:7], v[0:1], v[4:5], -v[6:7]
	;; [unrolled: 4-line block ×17, first 2 shown]
	v_add_f64 v[4:5], v[4:5], s[34:35]
	s_mov_b32 s34, 0
	s_brev_b32 s35, 8
	v_cmp_gt_f64_e32 vcc, s[34:35], v[2:3]
	s_mov_b32 s34, 0xcc7470a9
	s_mov_b32 s35, 0x3eed413f
	v_fma_f64 v[6:7], v[0:1], v[4:5], -v[6:7]
	v_cndmask_b32_e32 v8, 0, v8, vcc
	v_ldexp_f64 v[2:3], v[2:3], v8
	v_add_f64 v[6:7], v[6:7], s[34:35]
	s_mov_b32 s34, 0xe7889f42
	s_mov_b32 s35, 0xbf20d797
	v_rsq_f64_e32 v[8:9], v[2:3]
	v_fma_f64 v[4:5], v[0:1], v[6:7], -v[4:5]
	v_add_f64 v[4:5], v[4:5], s[34:35]
	s_mov_b32 s34, 0xfca79342
	s_mov_b32 s35, 0x3f59b891
	v_mul_f64 v[10:11], v[2:3], v[8:9]
	v_mul_f64 v[8:9], v[8:9], 0.5
	v_fma_f64 v[6:7], v[0:1], v[4:5], -v[6:7]
	v_fma_f64 v[12:13], -v[8:9], v[10:11], 0.5
	v_add_f64 v[6:7], v[6:7], s[34:35]
	s_mov_b32 s34, 0x2d4ff71e
	s_mov_b32 s35, 0xbfa019f7
	v_fma_f64 v[10:11], v[10:11], v[12:13], v[10:11]
	v_fma_f64 v[8:9], v[8:9], v[12:13], v[8:9]
	v_fma_f64 v[4:5], v[0:1], v[6:7], -v[4:5]
	v_fma_f64 v[12:13], -v[10:11], v[10:11], v[2:3]
	v_add_f64 v[4:5], v[4:5], s[34:35]
	s_mov_b32 s34, 0x9f4e6907
	s_mov_b32 s35, 0x400385bd
	v_fma_f64 v[10:11], v[12:13], v[8:9], v[10:11]
	v_fma_f64 v[0:1], v[0:1], v[4:5], -v[6:7]
	v_fma_f64 v[4:5], -v[10:11], v[10:11], v[2:3]
	v_add_f64 v[0:1], v[0:1], s[34:35]
	v_fma_f64 v[4:5], v[4:5], v[8:9], v[10:11]
	v_add_f64 v[0:1], v[0:1], -v[6:7]
	v_mov_b32_e32 v6, 0xffffff80
	v_mov_b32_e32 v7, 0x260
	v_cndmask_b32_e32 v6, 0, v6, vcc
	v_cmp_class_f64_e32 vcc, v[2:3], v7
	v_ldexp_f64 v[4:5], v[4:5], v6
	v_mul_f64 v[0:1], v[0:1], 0.5
	v_cndmask_b32_e32 v3, v5, v3, vcc
	v_cndmask_b32_e32 v2, v4, v2, vcc
	v_div_scale_f64 v[4:5], s[34:35], v[2:3], v[2:3], v[0:1]
	v_div_scale_f64 v[10:11], vcc, v[0:1], v[2:3], v[0:1]
	v_rcp_f64_e32 v[6:7], v[4:5]
	v_fma_f64 v[8:9], -v[4:5], v[6:7], 1.0
	v_fma_f64 v[6:7], v[6:7], v[8:9], v[6:7]
	v_fma_f64 v[8:9], -v[4:5], v[6:7], 1.0
	v_fma_f64 v[6:7], v[6:7], v[8:9], v[6:7]
	v_mul_f64 v[8:9], v[10:11], v[6:7]
	v_fma_f64 v[4:5], -v[4:5], v[8:9], v[10:11]
	v_div_fmas_f64 v[4:5], v[4:5], v[6:7], v[8:9]
	v_div_fixup_f64 v[0:1], v[4:5], v[2:3], v[0:1]
.LBB8_669:
	s_or_b64 exec, exec, s[0:1]
.LBB8_670:
	s_or_b64 exec, exec, s[30:31]
.LBB8_671:
	s_or_b64 exec, exec, s[28:29]
	v_mul_lo_u32 v2, v26, s2
	v_mov_b32_e32 v3, s9
	s_and_b32 s36, s33, 0xff
	s_cmp_lt_i32 s36, 11
	v_ashrrev_i32_e32 v5, 31, v2
	v_add_co_u32_e32 v4, vcc, s8, v2
	v_addc_co_u32_e32 v5, vcc, v3, v5, vcc
	s_cbranch_scc1 .LBB8_679
; %bb.672:
	s_and_b32 s37, 0xffff, s36
	s_cmp_gt_i32 s37, 25
	s_cbranch_scc0 .LBB8_680
; %bb.673:
	s_cmp_gt_i32 s37, 28
	s_cbranch_scc0 .LBB8_681
; %bb.674:
	;; [unrolled: 3-line block ×4, first 2 shown]
	s_mov_b64 s[30:31], 0
	s_mov_b64 s[0:1], -1
	s_cmp_eq_u32 s37, 46
	s_mov_b64 s[28:29], 0
	s_cbranch_scc0 .LBB8_684
; %bb.677:
	v_cvt_f32_f64_e32 v2, v[0:1]
	s_movk_i32 s0, 0x7fff
	v_mov_b32_e32 v3, 0x7fc0
	s_mov_b64 s[28:29], -1
	v_bfe_u32 v6, v2, 16, 1
	v_cmp_o_f32_e32 vcc, v2, v2
	v_add3_u32 v2, v2, v6, s0
	v_cndmask_b32_sdwa v2, v3, v2, vcc dst_sel:DWORD dst_unused:UNUSED_PAD src0_sel:DWORD src1_sel:WORD_1
	global_store_dword v[4:5], v2, off
	s_mov_b64 s[0:1], 0
	s_branch .LBB8_684
.LBB8_678:
	s_mov_b64 s[30:31], 0
                                        ; implicit-def: $vgpr26
	s_mov_b64 s[0:1], s[20:21]
	s_branch .LBB8_795
.LBB8_679:
	s_mov_b64 s[30:31], -1
	s_mov_b64 s[28:29], 0
	s_mov_b64 s[0:1], s[20:21]
	s_branch .LBB8_753
.LBB8_680:
	s_mov_b64 s[30:31], -1
	s_mov_b64 s[28:29], 0
	s_mov_b64 s[0:1], s[20:21]
	s_branch .LBB8_711
.LBB8_681:
	s_mov_b64 s[30:31], -1
	s_mov_b64 s[28:29], 0
	s_mov_b64 s[0:1], s[20:21]
	s_branch .LBB8_694
.LBB8_682:
	s_mov_b64 s[30:31], -1
	s_mov_b64 s[28:29], 0
	s_mov_b64 s[0:1], s[20:21]
	s_branch .LBB8_690
.LBB8_683:
	s_mov_b64 s[30:31], -1
	s_mov_b64 s[28:29], 0
	s_mov_b64 s[0:1], s[20:21]
.LBB8_684:
	s_and_b64 vcc, exec, s[30:31]
	s_cbranch_vccz .LBB8_689
; %bb.685:
	s_cmp_eq_u32 s37, 44
	s_mov_b64 s[0:1], -1
	s_cbranch_scc0 .LBB8_689
; %bb.686:
	v_cvt_f32_f64_e32 v2, v[0:1]
	s_movk_i32 s0, 0xff
	v_mov_b32_e32 v6, 0xff
	v_bfe_u32 v3, v2, 23, 8
	v_cmp_ne_u32_e32 vcc, s0, v3
	s_and_saveexec_b64 s[28:29], vcc
; %bb.687:
	s_mov_b32 s0, 0x3fffff
	v_lshrrev_b32_e32 v6, 23, v2
	v_and_b32_e32 v7, 0x400000, v2
	v_and_or_b32 v2, v2, s0, v3
	v_cmp_ne_u32_e32 vcc, 0, v7
	v_cmp_ne_u32_e64 s[0:1], 0, v2
	s_and_b64 s[0:1], vcc, s[0:1]
	v_cndmask_b32_e64 v2, 0, 1, s[0:1]
	v_add_u32_e32 v6, v6, v2
; %bb.688:
	s_or_b64 exec, exec, s[28:29]
	s_mov_b64 s[28:29], -1
	s_mov_b64 s[0:1], 0
	global_store_byte v[4:5], v6, off
.LBB8_689:
	s_mov_b64 s[30:31], 0
.LBB8_690:
	s_and_b64 vcc, exec, s[30:31]
	s_cbranch_vccz .LBB8_693
; %bb.691:
	s_cmp_eq_u32 s37, 29
	s_mov_b64 s[0:1], -1
	s_cbranch_scc0 .LBB8_693
; %bb.692:
	v_trunc_f64_e32 v[2:3], v[0:1]
	s_movk_i32 s0, 0xffe0
	s_mov_b64 s[28:29], -1
	s_mov_b64 s[30:31], 0
	v_ldexp_f64 v[6:7], v[2:3], s0
	s_mov_b32 s0, 0
	s_mov_b32 s1, 0xc1f00000
	v_floor_f64_e32 v[6:7], v[6:7]
	v_fma_f64 v[2:3], v[6:7], s[0:1], v[2:3]
	v_cvt_u32_f64_e32 v7, v[6:7]
	s_mov_b64 s[0:1], 0
	v_cvt_u32_f64_e32 v6, v[2:3]
	global_store_dwordx2 v[4:5], v[6:7], off
	s_branch .LBB8_694
.LBB8_693:
	s_mov_b64 s[30:31], 0
.LBB8_694:
	s_and_b64 vcc, exec, s[30:31]
	s_cbranch_vccz .LBB8_710
; %bb.695:
	s_cmp_lt_i32 s37, 27
	s_mov_b64 s[28:29], -1
	s_cbranch_scc1 .LBB8_701
; %bb.696:
	v_cvt_u32_f64_e32 v2, v[0:1]
	s_cmp_gt_i32 s37, 27
	s_cbranch_scc0 .LBB8_698
; %bb.697:
	s_mov_b64 s[28:29], 0
	global_store_dword v[4:5], v2, off
.LBB8_698:
	s_andn2_b64 vcc, exec, s[28:29]
	s_cbranch_vccnz .LBB8_700
; %bb.699:
	global_store_short v[4:5], v2, off
.LBB8_700:
	s_mov_b64 s[28:29], 0
.LBB8_701:
	s_andn2_b64 vcc, exec, s[28:29]
	s_cbranch_vccnz .LBB8_709
; %bb.702:
	v_cvt_f32_f64_e32 v2, v[0:1]
	s_mov_b32 s28, 0x43800000
	v_mov_b32_e32 v6, 0x80
	v_and_b32_e32 v3, 0x7fffffff, v2
	v_cmp_gt_u32_e32 vcc, s28, v3
	s_and_saveexec_b64 s[28:29], vcc
	s_cbranch_execz .LBB8_708
; %bb.703:
	s_mov_b32 s30, 0x3bffffff
	v_cmp_lt_u32_e32 vcc, s30, v3
	s_mov_b64 s[30:31], 0
                                        ; implicit-def: $vgpr3
	s_and_saveexec_b64 s[34:35], vcc
	s_xor_b64 s[34:35], exec, s[34:35]
	s_cbranch_execz .LBB8_809
; %bb.704:
	v_bfe_u32 v3, v2, 20, 1
	s_mov_b32 s38, 0x487ffff
	v_add3_u32 v3, v2, v3, s38
	s_mov_b64 s[30:31], exec
	v_lshrrev_b32_e32 v3, 20, v3
	s_andn2_saveexec_b64 s[34:35], s[34:35]
	s_cbranch_execnz .LBB8_810
.LBB8_705:
	s_or_b64 exec, exec, s[34:35]
	v_mov_b32_e32 v6, 0
	s_and_saveexec_b64 s[34:35], s[30:31]
.LBB8_706:
	v_lshrrev_b32_e32 v2, 24, v2
	s_movk_i32 s30, 0x80
	v_and_or_b32 v6, v2, s30, v3
.LBB8_707:
	s_or_b64 exec, exec, s[34:35]
.LBB8_708:
	s_or_b64 exec, exec, s[28:29]
	global_store_byte v[4:5], v6, off
.LBB8_709:
	s_mov_b64 s[28:29], -1
.LBB8_710:
	s_mov_b64 s[30:31], 0
.LBB8_711:
	s_and_b64 vcc, exec, s[30:31]
	s_cbranch_vccz .LBB8_752
; %bb.712:
	s_cmp_gt_i32 s37, 22
	s_mov_b64 s[30:31], -1
	s_cbranch_scc0 .LBB8_744
; %bb.713:
	s_cmp_lt_i32 s37, 24
	s_mov_b64 s[28:29], -1
	s_cbranch_scc1 .LBB8_733
; %bb.714:
	s_cmp_gt_i32 s37, 24
	s_cbranch_scc0 .LBB8_722
; %bb.715:
	v_cvt_f32_f64_e32 v2, v[0:1]
	s_mov_b32 s28, 0x47800000
	v_mov_b32_e32 v6, 0x80
	v_and_b32_e32 v3, 0x7fffffff, v2
	v_cmp_gt_u32_e32 vcc, s28, v3
	s_and_saveexec_b64 s[28:29], vcc
	s_cbranch_execz .LBB8_721
; %bb.716:
	s_mov_b32 s30, 0x37ffffff
	v_cmp_lt_u32_e32 vcc, s30, v3
	s_mov_b64 s[30:31], 0
                                        ; implicit-def: $vgpr3
	s_and_saveexec_b64 s[34:35], vcc
	s_xor_b64 s[34:35], exec, s[34:35]
	s_cbranch_execz .LBB8_812
; %bb.717:
	v_bfe_u32 v3, v2, 21, 1
	s_mov_b32 s38, 0x88fffff
	v_add3_u32 v3, v2, v3, s38
	s_mov_b64 s[30:31], exec
	v_lshrrev_b32_e32 v3, 21, v3
	s_andn2_saveexec_b64 s[34:35], s[34:35]
	s_cbranch_execnz .LBB8_813
.LBB8_718:
	s_or_b64 exec, exec, s[34:35]
	v_mov_b32_e32 v6, 0
	s_and_saveexec_b64 s[34:35], s[30:31]
.LBB8_719:
	v_lshrrev_b32_e32 v2, 24, v2
	s_movk_i32 s30, 0x80
	v_and_or_b32 v6, v2, s30, v3
.LBB8_720:
	s_or_b64 exec, exec, s[34:35]
.LBB8_721:
	s_or_b64 exec, exec, s[28:29]
	s_mov_b64 s[28:29], 0
	global_store_byte v[4:5], v6, off
.LBB8_722:
	s_and_b64 vcc, exec, s[28:29]
	s_cbranch_vccz .LBB8_732
; %bb.723:
	v_cvt_f32_f64_e32 v2, v[0:1]
	s_mov_b32 s28, 0x43f00000
                                        ; implicit-def: $vgpr3
	v_and_b32_e32 v6, 0x7fffffff, v2
	v_cmp_gt_u32_e32 vcc, s28, v6
	s_and_saveexec_b64 s[28:29], vcc
	s_xor_b64 s[28:29], exec, s[28:29]
	s_cbranch_execz .LBB8_729
; %bb.724:
	s_mov_b32 s30, 0x3c7fffff
	v_cmp_lt_u32_e32 vcc, s30, v6
                                        ; implicit-def: $vgpr3
	s_and_saveexec_b64 s[30:31], vcc
	s_xor_b64 s[30:31], exec, s[30:31]
; %bb.725:
	v_bfe_u32 v3, v2, 20, 1
	s_mov_b32 s34, 0x407ffff
	v_add3_u32 v3, v2, v3, s34
	v_lshrrev_b32_e32 v6, 20, v3
	v_and_b32_e32 v3, 0xff00000, v3
	s_mov_b32 s34, 0x7f00000
	v_mov_b32_e32 v7, 0x7e
	v_cmp_ne_u32_e32 vcc, s34, v3
	v_cndmask_b32_e32 v3, v7, v6, vcc
; %bb.726:
	s_andn2_saveexec_b64 s[30:31], s[30:31]
; %bb.727:
	s_mov_b32 s34, 0x46800000
	v_add_f32_e64 v3, |v2|, s34
; %bb.728:
	s_or_b64 exec, exec, s[30:31]
                                        ; implicit-def: $vgpr6
.LBB8_729:
	s_andn2_saveexec_b64 s[28:29], s[28:29]
; %bb.730:
	s_mov_b32 s30, 0x7f800000
	v_mov_b32_e32 v3, 0x7e
	v_mov_b32_e32 v7, 0x7f
	v_cmp_lt_u32_e32 vcc, s30, v6
	v_cndmask_b32_e32 v3, v3, v7, vcc
; %bb.731:
	s_or_b64 exec, exec, s[28:29]
	v_lshrrev_b32_e32 v2, 24, v2
	s_movk_i32 s28, 0x80
	v_and_or_b32 v2, v2, s28, v3
	global_store_byte v[4:5], v2, off
.LBB8_732:
	s_mov_b64 s[28:29], 0
.LBB8_733:
	s_andn2_b64 vcc, exec, s[28:29]
	s_cbranch_vccnz .LBB8_743
; %bb.734:
	v_cvt_f32_f64_e32 v2, v[0:1]
	s_mov_b32 s28, 0x47800000
                                        ; implicit-def: $vgpr3
	v_and_b32_e32 v6, 0x7fffffff, v2
	v_cmp_gt_u32_e32 vcc, s28, v6
	s_and_saveexec_b64 s[28:29], vcc
	s_xor_b64 s[28:29], exec, s[28:29]
	s_cbranch_execz .LBB8_740
; %bb.735:
	s_mov_b32 s30, 0x387fffff
	v_cmp_lt_u32_e32 vcc, s30, v6
                                        ; implicit-def: $vgpr3
	s_and_saveexec_b64 s[30:31], vcc
	s_xor_b64 s[30:31], exec, s[30:31]
; %bb.736:
	v_bfe_u32 v3, v2, 21, 1
	s_mov_b32 s34, 0x80fffff
	v_add3_u32 v3, v2, v3, s34
	v_lshrrev_b32_e32 v3, 21, v3
; %bb.737:
	s_andn2_saveexec_b64 s[30:31], s[30:31]
; %bb.738:
	s_mov_b32 s34, 0x43000000
	v_add_f32_e64 v3, |v2|, s34
; %bb.739:
	s_or_b64 exec, exec, s[30:31]
                                        ; implicit-def: $vgpr6
.LBB8_740:
	s_andn2_saveexec_b64 s[28:29], s[28:29]
; %bb.741:
	s_mov_b32 s30, 0x7f800000
	v_mov_b32_e32 v3, 0x7c
	v_mov_b32_e32 v7, 0x7f
	v_cmp_lt_u32_e32 vcc, s30, v6
	v_cndmask_b32_e32 v3, v3, v7, vcc
; %bb.742:
	s_or_b64 exec, exec, s[28:29]
	v_lshrrev_b32_e32 v2, 24, v2
	s_movk_i32 s28, 0x80
	v_and_or_b32 v2, v2, s28, v3
	global_store_byte v[4:5], v2, off
.LBB8_743:
	s_mov_b64 s[30:31], 0
	s_mov_b64 s[28:29], -1
.LBB8_744:
	s_andn2_b64 vcc, exec, s[30:31]
	s_cbranch_vccnz .LBB8_752
; %bb.745:
	s_cmp_gt_i32 s37, 14
	s_mov_b64 s[30:31], -1
	s_cbranch_scc0 .LBB8_749
; %bb.746:
	s_cmp_eq_u32 s37, 15
	s_mov_b64 s[0:1], -1
	s_cbranch_scc0 .LBB8_748
; %bb.747:
	v_cvt_f32_f64_e32 v2, v[0:1]
	s_movk_i32 s0, 0x7fff
	v_mov_b32_e32 v3, 0x7fc0
	s_mov_b64 s[28:29], -1
	v_bfe_u32 v6, v2, 16, 1
	v_cmp_o_f32_e32 vcc, v2, v2
	v_add3_u32 v2, v2, v6, s0
	v_cndmask_b32_sdwa v2, v3, v2, vcc dst_sel:DWORD dst_unused:UNUSED_PAD src0_sel:DWORD src1_sel:WORD_1
	global_store_short v[4:5], v2, off
	s_mov_b64 s[0:1], 0
.LBB8_748:
	s_mov_b64 s[30:31], 0
.LBB8_749:
	s_and_b64 vcc, exec, s[30:31]
	s_cbranch_vccz .LBB8_752
; %bb.750:
	s_cmp_eq_u32 s37, 11
	s_mov_b64 s[0:1], -1
	s_cbranch_scc0 .LBB8_752
; %bb.751:
	v_cmp_neq_f64_e32 vcc, 0, v[0:1]
	s_mov_b64 s[0:1], 0
	s_mov_b64 s[28:29], -1
	v_cndmask_b32_e64 v2, 0, 1, vcc
	global_store_byte v[4:5], v2, off
.LBB8_752:
	s_mov_b64 s[30:31], 0
.LBB8_753:
	s_and_b64 vcc, exec, s[30:31]
	s_cbranch_vccz .LBB8_792
; %bb.754:
	s_and_b32 s30, 0xffff, s36
	s_cmp_lt_i32 s30, 5
	s_mov_b64 s[28:29], -1
	s_cbranch_scc1 .LBB8_775
; %bb.755:
	s_cmp_lt_i32 s30, 8
	s_cbranch_scc1 .LBB8_765
; %bb.756:
	s_cmp_lt_i32 s30, 9
	s_cbranch_scc1 .LBB8_762
; %bb.757:
	s_cmp_gt_i32 s30, 9
	s_cbranch_scc0 .LBB8_759
; %bb.758:
	v_mov_b32_e32 v2, 0
	v_mov_b32_e32 v3, v2
	s_mov_b64 s[28:29], 0
	global_store_dwordx4 v[4:5], v[0:3], off
.LBB8_759:
	s_andn2_b64 vcc, exec, s[28:29]
	s_cbranch_vccnz .LBB8_761
; %bb.760:
	v_cvt_f32_f64_e32 v2, v[0:1]
	v_mov_b32_e32 v3, 0
	global_store_dwordx2 v[4:5], v[2:3], off
.LBB8_761:
	s_mov_b64 s[28:29], 0
.LBB8_762:
	s_andn2_b64 vcc, exec, s[28:29]
	s_cbranch_vccnz .LBB8_764
; %bb.763:
	s_movk_i32 s28, 0x1ff
	v_and_or_b32 v2, v1, s28, v0
	v_cmp_ne_u32_e32 vcc, 0, v2
	v_cndmask_b32_e64 v2, 0, 1, vcc
	v_lshrrev_b32_e32 v3, 8, v1
	s_movk_i32 s28, 0xffe
	v_bfe_u32 v6, v1, 20, 11
	v_and_or_b32 v2, v3, s28, v2
	v_sub_u32_e32 v7, 0x3f1, v6
	v_or_b32_e32 v3, 0x1000, v2
	v_med3_i32 v7, v7, 0, 13
	v_lshrrev_b32_e32 v8, v7, v3
	v_lshlrev_b32_e32 v7, v7, v8
	v_cmp_ne_u32_e32 vcc, v7, v3
	v_cndmask_b32_e64 v3, 0, 1, vcc
	v_add_u32_e32 v6, 0xfffffc10, v6
	v_or_b32_e32 v3, v8, v3
	v_lshl_or_b32 v7, v6, 12, v2
	v_cmp_gt_i32_e32 vcc, 1, v6
	v_cndmask_b32_e32 v3, v7, v3, vcc
	v_and_b32_e32 v7, 7, v3
	v_cmp_lt_i32_e32 vcc, 5, v7
	v_cndmask_b32_e64 v8, 0, 1, vcc
	v_cmp_eq_u32_e32 vcc, 3, v7
	v_cndmask_b32_e64 v7, 0, 1, vcc
	v_or_b32_e32 v7, v7, v8
	v_lshrrev_b32_e32 v3, 2, v3
	v_add_u32_e32 v3, v3, v7
	v_mov_b32_e32 v7, 0x7c00
	v_cmp_gt_i32_e32 vcc, 31, v6
	v_cndmask_b32_e32 v3, v7, v3, vcc
	v_mov_b32_e32 v8, 0x7e00
	v_cmp_ne_u32_e32 vcc, 0, v2
	s_movk_i32 s28, 0x40f
	v_cndmask_b32_e32 v2, v7, v8, vcc
	v_cmp_eq_u32_e32 vcc, s28, v6
	v_cndmask_b32_e32 v2, v3, v2, vcc
	v_lshrrev_b32_e32 v3, 16, v1
	s_mov_b32 s28, 0x8000
	v_and_or_b32 v2, v3, s28, v2
	v_and_b32_e32 v2, 0xffff, v2
	global_store_dword v[4:5], v2, off
.LBB8_764:
	s_mov_b64 s[28:29], 0
.LBB8_765:
	s_andn2_b64 vcc, exec, s[28:29]
	s_cbranch_vccnz .LBB8_774
; %bb.766:
	s_cmp_lt_i32 s30, 6
	s_mov_b64 s[28:29], -1
	s_cbranch_scc1 .LBB8_772
; %bb.767:
	s_cmp_gt_i32 s30, 6
	s_cbranch_scc0 .LBB8_769
; %bb.768:
	s_mov_b64 s[28:29], 0
	global_store_dwordx2 v[4:5], v[0:1], off
.LBB8_769:
	s_andn2_b64 vcc, exec, s[28:29]
	s_cbranch_vccnz .LBB8_771
; %bb.770:
	v_cvt_f32_f64_e32 v2, v[0:1]
	global_store_dword v[4:5], v2, off
.LBB8_771:
	s_mov_b64 s[28:29], 0
.LBB8_772:
	s_andn2_b64 vcc, exec, s[28:29]
	s_cbranch_vccnz .LBB8_774
; %bb.773:
	s_movk_i32 s28, 0x1ff
	v_and_or_b32 v2, v1, s28, v0
	v_cmp_ne_u32_e32 vcc, 0, v2
	v_cndmask_b32_e64 v2, 0, 1, vcc
	v_lshrrev_b32_e32 v3, 8, v1
	s_movk_i32 s28, 0xffe
	v_bfe_u32 v6, v1, 20, 11
	v_and_or_b32 v2, v3, s28, v2
	v_sub_u32_e32 v7, 0x3f1, v6
	v_or_b32_e32 v3, 0x1000, v2
	v_med3_i32 v7, v7, 0, 13
	v_lshrrev_b32_e32 v8, v7, v3
	v_lshlrev_b32_e32 v7, v7, v8
	v_cmp_ne_u32_e32 vcc, v7, v3
	v_cndmask_b32_e64 v3, 0, 1, vcc
	v_add_u32_e32 v6, 0xfffffc10, v6
	v_or_b32_e32 v3, v8, v3
	v_lshl_or_b32 v7, v6, 12, v2
	v_cmp_gt_i32_e32 vcc, 1, v6
	v_cndmask_b32_e32 v3, v7, v3, vcc
	v_and_b32_e32 v7, 7, v3
	v_cmp_lt_i32_e32 vcc, 5, v7
	v_cndmask_b32_e64 v8, 0, 1, vcc
	v_cmp_eq_u32_e32 vcc, 3, v7
	v_cndmask_b32_e64 v7, 0, 1, vcc
	v_or_b32_e32 v7, v7, v8
	v_lshrrev_b32_e32 v3, 2, v3
	v_add_u32_e32 v3, v3, v7
	v_mov_b32_e32 v7, 0x7c00
	v_cmp_gt_i32_e32 vcc, 31, v6
	v_cndmask_b32_e32 v3, v7, v3, vcc
	v_mov_b32_e32 v8, 0x7e00
	v_cmp_ne_u32_e32 vcc, 0, v2
	s_movk_i32 s28, 0x40f
	v_cndmask_b32_e32 v2, v7, v8, vcc
	v_cmp_eq_u32_e32 vcc, s28, v6
	v_cndmask_b32_e32 v2, v3, v2, vcc
	v_lshrrev_b32_e32 v3, 16, v1
	s_mov_b32 s28, 0x8000
	v_and_or_b32 v2, v3, s28, v2
	global_store_short v[4:5], v2, off
.LBB8_774:
	s_mov_b64 s[28:29], 0
.LBB8_775:
	s_andn2_b64 vcc, exec, s[28:29]
	s_cbranch_vccnz .LBB8_791
; %bb.776:
	s_cmp_lt_i32 s30, 2
	s_mov_b64 s[28:29], -1
	s_cbranch_scc1 .LBB8_786
; %bb.777:
	s_cmp_lt_i32 s30, 3
	s_cbranch_scc1 .LBB8_783
; %bb.778:
	s_cmp_gt_i32 s30, 3
	s_cbranch_scc0 .LBB8_780
; %bb.779:
	v_trunc_f64_e32 v[2:3], v[0:1]
	s_movk_i32 s28, 0xffe0
	v_ldexp_f64 v[6:7], v[2:3], s28
	s_mov_b32 s28, 0
	s_mov_b32 s29, 0xc1f00000
	v_floor_f64_e32 v[6:7], v[6:7]
	v_fma_f64 v[2:3], v[6:7], s[28:29], v[2:3]
	v_cvt_i32_f64_e32 v7, v[6:7]
	s_mov_b64 s[28:29], 0
	v_cvt_u32_f64_e32 v6, v[2:3]
	global_store_dwordx2 v[4:5], v[6:7], off
.LBB8_780:
	s_andn2_b64 vcc, exec, s[28:29]
	s_cbranch_vccnz .LBB8_782
; %bb.781:
	v_cvt_i32_f64_e32 v2, v[0:1]
	global_store_dword v[4:5], v2, off
.LBB8_782:
	s_mov_b64 s[28:29], 0
.LBB8_783:
	s_andn2_b64 vcc, exec, s[28:29]
	s_cbranch_vccnz .LBB8_785
; %bb.784:
	v_cvt_i32_f64_e32 v2, v[0:1]
	global_store_short v[4:5], v2, off
.LBB8_785:
	s_mov_b64 s[28:29], 0
.LBB8_786:
	s_andn2_b64 vcc, exec, s[28:29]
	s_cbranch_vccnz .LBB8_791
; %bb.787:
	s_cmp_gt_i32 s30, 0
	s_mov_b64 s[28:29], -1
	s_cbranch_scc0 .LBB8_789
; %bb.788:
	v_cvt_i32_f64_e32 v2, v[0:1]
	s_mov_b64 s[28:29], 0
	global_store_byte v[4:5], v2, off
.LBB8_789:
	s_andn2_b64 vcc, exec, s[28:29]
	s_cbranch_vccnz .LBB8_791
; %bb.790:
	v_trunc_f64_e32 v[0:1], v[0:1]
	s_movk_i32 s28, 0xffe0
	v_ldexp_f64 v[2:3], v[0:1], s28
	s_mov_b32 s28, 0
	s_mov_b32 s29, 0xc1f00000
	v_floor_f64_e32 v[2:3], v[2:3]
	v_fma_f64 v[0:1], v[2:3], s[28:29], v[0:1]
	v_cvt_u32_f64_e32 v0, v[0:1]
	global_store_byte v[4:5], v0, off
.LBB8_791:
	s_mov_b64 s[28:29], -1
.LBB8_792:
	s_andn2_b64 vcc, exec, s[28:29]
	s_cbranch_vccnz .LBB8_794
; %bb.793:
	v_add_u32_e32 v26, 0x80, v26
	s_mov_b64 s[30:31], -1
	s_branch .LBB8_795
.LBB8_794:
	s_mov_b64 s[30:31], 0
                                        ; implicit-def: $vgpr26
.LBB8_795:
	s_andn2_b64 s[28:29], s[20:21], exec
	s_and_b64 s[0:1], s[0:1], exec
	s_or_b64 s[28:29], s[28:29], s[0:1]
	s_andn2_b64 s[0:1], s[18:19], exec
	s_and_b64 s[26:27], s[26:27], exec
	s_or_b64 s[0:1], s[0:1], s[26:27]
	s_orn2_b64 s[34:35], s[30:31], exec
.LBB8_796:
	s_or_b64 exec, exec, s[24:25]
	s_mov_b64 s[30:31], 0
	s_mov_b64 s[26:27], 0
	;; [unrolled: 1-line block ×3, first 2 shown]
                                        ; implicit-def: $vgpr0_vgpr1
                                        ; implicit-def: $vgpr2_vgpr3
	s_and_saveexec_b64 s[24:25], s[34:35]
	s_cbranch_execz .LBB8_881
; %bb.797:
	v_cmp_gt_i32_e32 vcc, s55, v26
	s_mov_b64 s[34:35], 0
	s_mov_b64 s[38:39], s[0:1]
	s_mov_b64 s[40:41], 0
                                        ; implicit-def: $vgpr0_vgpr1
                                        ; implicit-def: $vgpr2_vgpr3
	s_and_saveexec_b64 s[26:27], vcc
	s_cbranch_execz .LBB8_880
; %bb.798:
	v_mul_lo_u32 v0, v26, s3
	v_mov_b32_e32 v1, s11
	s_and_b32 s42, 0xffff, s54
	s_cmp_lt_i32 s42, 11
	s_waitcnt vmcnt(0)
	v_ashrrev_i32_e32 v2, 31, v0
	v_add_co_u32_e32 v0, vcc, s10, v0
	v_addc_co_u32_e32 v1, vcc, v1, v2, vcc
	s_cbranch_scc1 .LBB8_805
; %bb.799:
	s_cmp_gt_i32 s42, 25
	s_cbranch_scc0 .LBB8_806
; %bb.800:
	s_cmp_gt_i32 s42, 28
	s_cbranch_scc0 .LBB8_807
	;; [unrolled: 3-line block ×4, first 2 shown]
; %bb.803:
	s_cmp_eq_u32 s42, 46
	s_mov_b64 s[38:39], 0
	s_cbranch_scc0 .LBB8_814
; %bb.804:
	global_load_dword v2, v[0:1], off
	s_mov_b64 s[36:37], -1
	s_waitcnt vmcnt(0)
	v_lshlrev_b32_e32 v2, 16, v2
	v_cvt_f64_f32_e32 v[2:3], v2
	s_branch .LBB8_816
.LBB8_805:
	s_mov_b64 s[38:39], -1
                                        ; implicit-def: $vgpr2_vgpr3
	s_mov_b64 s[30:31], s[0:1]
	s_branch .LBB8_879
.LBB8_806:
	s_mov_b64 s[38:39], -1
	s_mov_b64 s[30:31], s[0:1]
                                        ; implicit-def: $vgpr2_vgpr3
	s_branch .LBB8_847
.LBB8_807:
	s_mov_b64 s[38:39], -1
	s_mov_b64 s[30:31], s[0:1]
                                        ; implicit-def: $vgpr2_vgpr3
	s_branch .LBB8_826
.LBB8_808:
	s_mov_b64 s[38:39], -1
	s_mov_b64 s[30:31], s[0:1]
                                        ; implicit-def: $vgpr2_vgpr3
	s_branch .LBB8_821
.LBB8_809:
	s_andn2_saveexec_b64 s[34:35], s[34:35]
	s_cbranch_execz .LBB8_705
.LBB8_810:
	s_mov_b32 s38, 0x46000000
	v_add_f32_e64 v3, |v2|, s38
	v_and_b32_e32 v3, 0xff, v3
	v_cmp_ne_u32_e32 vcc, 0, v3
	s_andn2_b64 s[30:31], s[30:31], exec
	s_and_b64 s[38:39], vcc, exec
	s_or_b64 s[30:31], s[30:31], s[38:39]
	s_or_b64 exec, exec, s[34:35]
	v_mov_b32_e32 v6, 0
	s_and_saveexec_b64 s[34:35], s[30:31]
	s_cbranch_execnz .LBB8_706
	s_branch .LBB8_707
.LBB8_811:
	s_mov_b64 s[38:39], -1
	s_mov_b64 s[30:31], s[0:1]
	s_branch .LBB8_815
.LBB8_812:
	s_andn2_saveexec_b64 s[34:35], s[34:35]
	s_cbranch_execz .LBB8_718
.LBB8_813:
	s_mov_b32 s38, 0x42800000
	v_add_f32_e64 v3, |v2|, s38
	v_and_b32_e32 v3, 0xff, v3
	v_cmp_ne_u32_e32 vcc, 0, v3
	s_andn2_b64 s[30:31], s[30:31], exec
	s_and_b64 s[38:39], vcc, exec
	s_or_b64 s[30:31], s[30:31], s[38:39]
	s_or_b64 exec, exec, s[34:35]
	v_mov_b32_e32 v6, 0
	s_and_saveexec_b64 s[34:35], s[30:31]
	s_cbranch_execnz .LBB8_719
	s_branch .LBB8_720
.LBB8_814:
	s_mov_b64 s[30:31], -1
.LBB8_815:
                                        ; implicit-def: $vgpr2_vgpr3
.LBB8_816:
	s_and_b64 vcc, exec, s[38:39]
	s_cbranch_vccz .LBB8_820
; %bb.817:
	s_cmp_eq_u32 s42, 44
	s_cbranch_scc0 .LBB8_819
; %bb.818:
	global_load_ubyte v4, v[0:1], off
	s_movk_i32 s36, 0xff
	v_bfrev_b32_e32 v5, 4
	v_mov_b32_e32 v6, 0x7ff80000
	v_bfrev_b32_e32 v7, 28
	s_mov_b64 s[30:31], 0
	s_waitcnt vmcnt(0)
	v_lshlrev_b32_e32 v2, 23, v4
	v_cvt_f64_f32_e32 v[2:3], v2
	v_cmp_ne_u32_e32 vcc, s36, v4
	s_mov_b64 s[36:37], -1
	v_cndmask_b32_e32 v2, v5, v2, vcc
	v_cndmask_b32_e32 v3, v6, v3, vcc
	v_cmp_ne_u32_e32 vcc, 0, v4
	v_cndmask_b32_e32 v3, v7, v3, vcc
	v_cndmask_b32_e32 v2, 0, v2, vcc
	s_branch .LBB8_820
.LBB8_819:
	s_mov_b64 s[30:31], -1
                                        ; implicit-def: $vgpr2_vgpr3
.LBB8_820:
	s_mov_b64 s[38:39], 0
.LBB8_821:
	s_and_b64 vcc, exec, s[38:39]
	s_cbranch_vccz .LBB8_825
; %bb.822:
	s_cmp_eq_u32 s42, 29
	s_cbranch_scc0 .LBB8_824
; %bb.823:
	global_load_dwordx2 v[2:3], v[0:1], off
	s_mov_b64 s[30:31], 0
	s_mov_b64 s[36:37], -1
	s_mov_b64 s[38:39], 0
	s_waitcnt vmcnt(0)
	v_cvt_f64_u32_e32 v[3:4], v3
	v_cvt_f64_u32_e32 v[5:6], v2
	v_ldexp_f64 v[3:4], v[3:4], 32
	v_add_f64 v[2:3], v[3:4], v[5:6]
	s_branch .LBB8_826
.LBB8_824:
	s_mov_b64 s[30:31], -1
                                        ; implicit-def: $vgpr2_vgpr3
.LBB8_825:
	s_mov_b64 s[38:39], 0
.LBB8_826:
	s_and_b64 vcc, exec, s[38:39]
	s_cbranch_vccz .LBB8_846
; %bb.827:
	s_cmp_lt_i32 s42, 27
	s_cbranch_scc1 .LBB8_830
; %bb.828:
	s_cmp_gt_i32 s42, 27
	s_cbranch_scc0 .LBB8_831
; %bb.829:
	global_load_dword v2, v[0:1], off
	s_mov_b64 s[36:37], 0
	s_waitcnt vmcnt(0)
	v_cvt_f64_u32_e32 v[2:3], v2
	s_branch .LBB8_832
.LBB8_830:
	s_mov_b64 s[36:37], -1
                                        ; implicit-def: $vgpr2_vgpr3
	s_branch .LBB8_835
.LBB8_831:
	s_mov_b64 s[36:37], -1
                                        ; implicit-def: $vgpr2_vgpr3
.LBB8_832:
	s_andn2_b64 vcc, exec, s[36:37]
	s_cbranch_vccnz .LBB8_834
; %bb.833:
	global_load_ushort v2, v[0:1], off
	s_waitcnt vmcnt(0)
	v_cvt_f64_u32_e32 v[2:3], v2
.LBB8_834:
	s_mov_b64 s[36:37], 0
.LBB8_835:
	s_andn2_b64 vcc, exec, s[36:37]
	s_cbranch_vccnz .LBB8_845
; %bb.836:
	global_load_ubyte v4, v[0:1], off
	s_movk_i32 s36, 0x7f
	s_waitcnt vmcnt(0)
	v_cmp_lt_i16_e32 vcc, s36, v4
	s_mov_b64 s[36:37], 0
	s_and_saveexec_b64 s[38:39], vcc
	s_xor_b64 s[38:39], exec, s[38:39]
	s_cbranch_execz .LBB8_840
; %bb.837:
	s_movk_i32 s36, 0x80
	v_cmp_eq_u16_e32 vcc, s36, v4
	s_mov_b64 s[36:37], -1
	s_and_saveexec_b64 s[40:41], vcc
; %bb.838:
	s_xor_b64 s[36:37], exec, -1
; %bb.839:
	s_or_b64 exec, exec, s[40:41]
	s_and_b64 s[36:37], s[36:37], exec
.LBB8_840:
	s_or_saveexec_b64 s[38:39], s[38:39]
	v_bfrev_b32_e32 v2, 4
	v_mov_b32_e32 v3, 0x7ff80000
	s_xor_b64 exec, exec, s[38:39]
; %bb.841:
	v_cmp_ne_u16_e32 vcc, 0, v4
	v_mov_b32_e32 v2, 0
	s_andn2_b64 s[36:37], s[36:37], exec
	s_and_b64 s[40:41], vcc, exec
	v_mov_b32_e32 v3, 0
	s_or_b64 s[36:37], s[36:37], s[40:41]
; %bb.842:
	s_or_b64 exec, exec, s[38:39]
	s_and_saveexec_b64 s[38:39], s[36:37]
	s_cbranch_execz .LBB8_844
; %bb.843:
	v_and_b32_e32 v3, 0xffff, v4
	v_lshlrev_b32_e32 v2, 24, v4
	v_and_b32_e32 v4, 7, v3
	v_ffbh_u32_e32 v6, v4
	v_min_u32_e32 v6, 32, v6
	v_subrev_u32_e32 v7, 28, v6
	v_bfe_u32 v5, v3, 3, 4
	v_lshlrev_b32_e32 v3, v7, v3
	v_sub_u32_e32 v6, 29, v6
	v_and_b32_e32 v3, 7, v3
	v_cmp_eq_u32_e32 vcc, 0, v5
	v_cndmask_b32_e32 v5, v5, v6, vcc
	v_cndmask_b32_e32 v3, v4, v3, vcc
	v_mov_b32_e32 v4, 0x3b800000
	v_lshlrev_b32_e32 v3, 20, v3
	v_and_b32_e32 v2, 0x80000000, v2
	v_lshl_add_u32 v4, v5, 23, v4
	v_or3_b32 v2, v2, v4, v3
	v_cvt_f64_f32_e32 v[2:3], v2
.LBB8_844:
	s_or_b64 exec, exec, s[38:39]
.LBB8_845:
	s_mov_b64 s[36:37], -1
.LBB8_846:
	s_mov_b64 s[38:39], 0
.LBB8_847:
	s_and_b64 vcc, exec, s[38:39]
	s_cbranch_vccz .LBB8_878
; %bb.848:
	s_cmp_gt_i32 s42, 22
	s_cbranch_scc0 .LBB8_860
; %bb.849:
	s_cmp_lt_i32 s42, 24
	s_cbranch_scc1 .LBB8_861
; %bb.850:
	s_cmp_gt_i32 s42, 24
	s_cbranch_scc0 .LBB8_862
; %bb.851:
	global_load_ubyte v4, v[0:1], off
	s_movk_i32 s34, 0x7f
	s_waitcnt vmcnt(0)
	v_cmp_lt_i16_e32 vcc, s34, v4
	s_mov_b64 s[34:35], 0
	s_and_saveexec_b64 s[36:37], vcc
	s_xor_b64 s[36:37], exec, s[36:37]
	s_cbranch_execz .LBB8_855
; %bb.852:
	s_movk_i32 s34, 0x80
	v_cmp_eq_u16_e32 vcc, s34, v4
	s_mov_b64 s[34:35], -1
	s_and_saveexec_b64 s[38:39], vcc
; %bb.853:
	s_xor_b64 s[34:35], exec, -1
; %bb.854:
	s_or_b64 exec, exec, s[38:39]
	s_and_b64 s[34:35], s[34:35], exec
.LBB8_855:
	s_or_saveexec_b64 s[36:37], s[36:37]
	v_bfrev_b32_e32 v2, 4
	v_mov_b32_e32 v3, 0x7ff80000
	s_xor_b64 exec, exec, s[36:37]
; %bb.856:
	v_cmp_ne_u16_e32 vcc, 0, v4
	v_mov_b32_e32 v2, 0
	s_andn2_b64 s[34:35], s[34:35], exec
	s_and_b64 s[38:39], vcc, exec
	v_mov_b32_e32 v3, 0
	s_or_b64 s[34:35], s[34:35], s[38:39]
; %bb.857:
	s_or_b64 exec, exec, s[36:37]
	s_and_saveexec_b64 s[36:37], s[34:35]
	s_cbranch_execz .LBB8_859
; %bb.858:
	v_and_b32_e32 v3, 0xffff, v4
	v_lshlrev_b32_e32 v2, 24, v4
	v_and_b32_e32 v4, 3, v3
	v_ffbh_u32_e32 v6, v4
	v_min_u32_e32 v6, 32, v6
	v_subrev_u32_e32 v7, 29, v6
	v_bfe_u32 v5, v3, 2, 5
	v_lshlrev_b32_e32 v3, v7, v3
	v_sub_u32_e32 v6, 30, v6
	v_and_b32_e32 v3, 3, v3
	v_cmp_eq_u32_e32 vcc, 0, v5
	v_cndmask_b32_e32 v5, v5, v6, vcc
	v_cndmask_b32_e32 v3, v4, v3, vcc
	v_mov_b32_e32 v4, 0x37800000
	v_lshlrev_b32_e32 v3, 21, v3
	v_and_b32_e32 v2, 0x80000000, v2
	v_lshl_add_u32 v4, v5, 23, v4
	v_or3_b32 v2, v2, v4, v3
	v_cvt_f64_f32_e32 v[2:3], v2
.LBB8_859:
	s_or_b64 exec, exec, s[36:37]
	s_mov_b64 s[34:35], 0
	s_branch .LBB8_863
.LBB8_860:
	s_mov_b64 s[34:35], -1
                                        ; implicit-def: $vgpr2_vgpr3
	s_branch .LBB8_869
.LBB8_861:
	s_mov_b64 s[34:35], -1
                                        ; implicit-def: $vgpr2_vgpr3
	s_branch .LBB8_866
.LBB8_862:
	s_mov_b64 s[34:35], -1
                                        ; implicit-def: $vgpr2_vgpr3
.LBB8_863:
	s_and_b64 vcc, exec, s[34:35]
	s_cbranch_vccz .LBB8_865
; %bb.864:
	global_load_ubyte v2, v[0:1], off
	s_mov_b32 s34, 0x7f800000
	s_waitcnt vmcnt(0)
	v_lshlrev_b32_e32 v2, 24, v2
	v_and_b32_e32 v3, 0x7f000000, v2
	v_ffbh_u32_e32 v4, v3
	v_min_u32_e32 v4, 32, v4
	v_sub_u32_e64 v4, v4, 4 clamp
	v_lshlrev_b32_e32 v6, v4, v3
	v_lshlrev_b32_e32 v4, 23, v4
	v_lshrrev_b32_e32 v6, 4, v6
	v_add_u32_e32 v5, 0x1000000, v3
	v_sub_u32_e32 v4, v6, v4
	v_ashrrev_i32_e32 v5, 8, v5
	v_add_u32_e32 v4, 0x3c000000, v4
	v_and_or_b32 v4, v5, s34, v4
	v_cmp_ne_u32_e32 vcc, 0, v3
	v_cndmask_b32_e32 v3, 0, v4, vcc
	s_brev_b32 s34, 1
	v_and_or_b32 v2, v2, s34, v3
	v_cvt_f64_f32_e32 v[2:3], v2
.LBB8_865:
	s_mov_b64 s[34:35], 0
.LBB8_866:
	s_andn2_b64 vcc, exec, s[34:35]
	s_cbranch_vccnz .LBB8_868
; %bb.867:
	global_load_ubyte v2, v[0:1], off
	s_movk_i32 s34, 0x7f00
	s_brev_b32 s35, 16
	s_waitcnt vmcnt(0)
	v_lshlrev_b16_e32 v3, 8, v2
	v_lshlrev_b32_e32 v2, 25, v2
	v_lshrrev_b32_e32 v4, 4, v2
	v_and_or_b32 v5, v3, s34, 0.5
	v_or_b32_e32 v4, 0x70000000, v4
	v_add_f32_e32 v5, -0.5, v5
	v_mul_f32_e32 v4, 0x7800000, v4
	v_cmp_gt_u32_e32 vcc, s35, v2
	v_bfe_i32 v3, v3, 0, 16
	v_cndmask_b32_e32 v2, v4, v5, vcc
	s_brev_b32 s34, 1
	v_and_or_b32 v2, v3, s34, v2
	v_cvt_f64_f32_e32 v[2:3], v2
.LBB8_868:
	s_mov_b64 s[34:35], 0
	s_mov_b64 s[36:37], -1
.LBB8_869:
	s_andn2_b64 vcc, exec, s[34:35]
	s_mov_b64 s[34:35], 0
	s_cbranch_vccnz .LBB8_878
; %bb.870:
	s_cmp_gt_i32 s42, 14
	s_cbranch_scc0 .LBB8_873
; %bb.871:
	s_cmp_eq_u32 s42, 15
	s_cbranch_scc0 .LBB8_874
; %bb.872:
	global_load_ushort v2, v[0:1], off
	s_mov_b64 s[30:31], 0
	s_mov_b64 s[36:37], -1
	s_waitcnt vmcnt(0)
	v_lshlrev_b32_e32 v2, 16, v2
	v_cvt_f64_f32_e32 v[2:3], v2
	s_branch .LBB8_875
.LBB8_873:
	s_mov_b64 s[38:39], -1
                                        ; implicit-def: $vgpr2_vgpr3
	s_branch .LBB8_876
.LBB8_874:
	s_mov_b64 s[30:31], -1
                                        ; implicit-def: $vgpr2_vgpr3
.LBB8_875:
	s_mov_b64 s[38:39], 0
.LBB8_876:
	s_and_b64 vcc, exec, s[38:39]
	s_cbranch_vccz .LBB8_878
; %bb.877:
	s_cmp_lg_u32 s42, 11
	s_cselect_b64 s[38:39], -1, 0
	s_andn2_b64 s[30:31], s[30:31], exec
	s_and_b64 s[38:39], s[38:39], exec
	s_mov_b64 s[34:35], -1
	s_or_b64 s[30:31], s[30:31], s[38:39]
.LBB8_878:
	s_mov_b64 s[38:39], 0
.LBB8_879:
	s_and_b64 s[40:41], s[38:39], exec
	s_andn2_b64 s[38:39], s[0:1], exec
	s_and_b64 s[30:31], s[30:31], exec
	s_and_b64 s[36:37], s[36:37], exec
	s_and_b64 s[34:35], s[34:35], exec
	s_or_b64 s[38:39], s[38:39], s[30:31]
.LBB8_880:
	s_or_b64 exec, exec, s[26:27]
	s_and_b64 s[30:31], s[34:35], exec
	s_andn2_b64 s[0:1], s[0:1], exec
	s_and_b64 s[34:35], s[38:39], exec
	s_and_b64 s[36:37], s[36:37], exec
	;; [unrolled: 1-line block ×3, first 2 shown]
	s_or_b64 s[0:1], s[0:1], s[34:35]
.LBB8_881:
	s_or_b64 exec, exec, s[24:25]
	s_andn2_b64 s[20:21], s[20:21], exec
	s_and_b64 s[24:25], s[28:29], exec
	s_andn2_b64 s[18:19], s[18:19], exec
	s_and_b64 s[0:1], s[0:1], exec
	s_or_b64 s[20:21], s[20:21], s[24:25]
	s_and_b64 s[28:29], s[36:37], exec
	s_and_b64 s[26:27], s[26:27], exec
	;; [unrolled: 1-line block ×3, first 2 shown]
	s_or_b64 s[18:19], s[18:19], s[0:1]
.LBB8_882:
	s_or_b64 exec, exec, s[22:23]
	s_andn2_b64 s[0:1], s[6:7], exec
	s_and_b64 s[6:7], s[20:21], exec
	s_andn2_b64 s[14:15], s[14:15], exec
	s_and_b64 s[18:19], s[18:19], exec
	s_or_b64 s[6:7], s[0:1], s[6:7]
	s_and_b64 s[0:1], s[28:29], exec
	s_and_b64 s[22:23], s[26:27], exec
	;; [unrolled: 1-line block ×3, first 2 shown]
	s_or_b64 s[14:15], s[14:15], s[18:19]
	s_or_b64 exec, exec, s[16:17]
	s_mov_b64 s[16:17], 0
	s_and_saveexec_b64 s[18:19], s[14:15]
	s_cbranch_execz .LBB8_270
.LBB8_883:
	s_mov_b64 s[16:17], exec
	s_andn2_b64 s[20:21], s[20:21], exec
	s_trap 2
	s_or_b64 exec, exec, s[18:19]
	s_and_saveexec_b64 s[14:15], s[20:21]
	s_xor_b64 s[14:15], exec, s[14:15]
	s_cbranch_execnz .LBB8_271
.LBB8_884:
	s_or_b64 exec, exec, s[14:15]
	s_and_saveexec_b64 s[14:15], s[22:23]
	s_cbranch_execz .LBB8_930
.LBB8_885:
	s_sext_i32_i16 s18, s54
	s_cmp_lt_i32 s18, 5
	s_cbranch_scc1 .LBB8_890
; %bb.886:
	s_cmp_lt_i32 s18, 8
	s_cbranch_scc1 .LBB8_891
; %bb.887:
	;; [unrolled: 3-line block ×3, first 2 shown]
	s_cmp_gt_i32 s18, 9
	s_cbranch_scc0 .LBB8_893
; %bb.889:
	global_load_dwordx2 v[2:3], v[0:1], off
	s_mov_b64 s[18:19], 0
	s_branch .LBB8_894
.LBB8_890:
                                        ; implicit-def: $vgpr2_vgpr3
	s_branch .LBB8_911
.LBB8_891:
                                        ; implicit-def: $vgpr2_vgpr3
	s_branch .LBB8_900
.LBB8_892:
	s_mov_b64 s[18:19], -1
                                        ; implicit-def: $vgpr2_vgpr3
	s_branch .LBB8_897
.LBB8_893:
	s_mov_b64 s[18:19], -1
                                        ; implicit-def: $vgpr2_vgpr3
.LBB8_894:
	s_andn2_b64 vcc, exec, s[18:19]
	s_cbranch_vccnz .LBB8_896
; %bb.895:
	global_load_dword v2, v[0:1], off
	s_waitcnt vmcnt(0)
	v_cvt_f64_f32_e32 v[2:3], v2
.LBB8_896:
	s_mov_b64 s[18:19], 0
.LBB8_897:
	s_andn2_b64 vcc, exec, s[18:19]
	s_cbranch_vccnz .LBB8_899
; %bb.898:
	global_load_dword v2, v[0:1], off
	s_waitcnt vmcnt(0)
	v_cvt_f32_f16_e32 v2, v2
	v_cvt_f64_f32_e32 v[2:3], v2
.LBB8_899:
	s_cbranch_execnz .LBB8_910
.LBB8_900:
	s_sext_i32_i16 s18, s54
	s_cmp_lt_i32 s18, 6
	s_cbranch_scc1 .LBB8_903
; %bb.901:
	s_cmp_gt_i32 s18, 6
	s_cbranch_scc0 .LBB8_904
; %bb.902:
	global_load_dwordx2 v[2:3], v[0:1], off
	s_mov_b64 s[18:19], 0
	s_branch .LBB8_905
.LBB8_903:
	s_mov_b64 s[18:19], -1
                                        ; implicit-def: $vgpr2_vgpr3
	s_branch .LBB8_908
.LBB8_904:
	s_mov_b64 s[18:19], -1
                                        ; implicit-def: $vgpr2_vgpr3
.LBB8_905:
	s_andn2_b64 vcc, exec, s[18:19]
	s_cbranch_vccnz .LBB8_907
; %bb.906:
	global_load_dword v2, v[0:1], off
	s_waitcnt vmcnt(0)
	v_cvt_f64_f32_e32 v[2:3], v2
.LBB8_907:
	s_mov_b64 s[18:19], 0
.LBB8_908:
	s_andn2_b64 vcc, exec, s[18:19]
	s_cbranch_vccnz .LBB8_910
; %bb.909:
	global_load_ushort v2, v[0:1], off
	s_waitcnt vmcnt(0)
	v_cvt_f32_f16_e32 v2, v2
	v_cvt_f64_f32_e32 v[2:3], v2
.LBB8_910:
	s_cbranch_execnz .LBB8_929
.LBB8_911:
	s_sext_i32_i16 s18, s54
	s_cmp_lt_i32 s18, 2
	s_cbranch_scc1 .LBB8_915
; %bb.912:
	s_cmp_lt_i32 s18, 3
	s_cbranch_scc1 .LBB8_916
; %bb.913:
	s_cmp_gt_i32 s18, 3
	s_cbranch_scc0 .LBB8_917
; %bb.914:
	global_load_dwordx2 v[2:3], v[0:1], off
	s_mov_b64 s[18:19], 0
	s_waitcnt vmcnt(0)
	v_cvt_f64_i32_e32 v[3:4], v3
	v_cvt_f64_u32_e32 v[5:6], v2
	v_ldexp_f64 v[3:4], v[3:4], 32
	v_add_f64 v[2:3], v[3:4], v[5:6]
	s_branch .LBB8_918
.LBB8_915:
                                        ; implicit-def: $vgpr2_vgpr3
	s_branch .LBB8_924
.LBB8_916:
	s_mov_b64 s[18:19], -1
                                        ; implicit-def: $vgpr2_vgpr3
	s_branch .LBB8_921
.LBB8_917:
	s_mov_b64 s[18:19], -1
                                        ; implicit-def: $vgpr2_vgpr3
.LBB8_918:
	s_andn2_b64 vcc, exec, s[18:19]
	s_cbranch_vccnz .LBB8_920
; %bb.919:
	global_load_dword v2, v[0:1], off
	s_waitcnt vmcnt(0)
	v_cvt_f64_i32_e32 v[2:3], v2
.LBB8_920:
	s_mov_b64 s[18:19], 0
.LBB8_921:
	s_andn2_b64 vcc, exec, s[18:19]
	s_cbranch_vccnz .LBB8_923
; %bb.922:
	global_load_sshort v2, v[0:1], off
	s_waitcnt vmcnt(0)
	v_cvt_f64_i32_e32 v[2:3], v2
.LBB8_923:
	s_cbranch_execnz .LBB8_929
.LBB8_924:
	s_sext_i32_i16 s18, s54
	s_cmp_gt_i32 s18, 0
	s_cbranch_scc0 .LBB8_926
; %bb.925:
	global_load_sbyte v2, v[0:1], off
	s_mov_b64 s[18:19], 0
	s_waitcnt vmcnt(0)
	v_cvt_f64_i32_e32 v[2:3], v2
	s_branch .LBB8_927
.LBB8_926:
	s_mov_b64 s[18:19], -1
                                        ; implicit-def: $vgpr2_vgpr3
.LBB8_927:
	s_andn2_b64 vcc, exec, s[18:19]
	s_cbranch_vccnz .LBB8_929
; %bb.928:
	global_load_ubyte v0, v[0:1], off
	s_waitcnt vmcnt(0)
	v_cvt_f64_u32_e32 v[2:3], v0
.LBB8_929:
	s_or_b64 s[0:1], s[0:1], exec
.LBB8_930:
	s_or_b64 exec, exec, s[14:15]
	s_mov_b64 s[20:21], 0
	s_mov_b64 s[18:19], 0
                                        ; implicit-def: $sgpr26
                                        ; implicit-def: $vgpr4_vgpr5
                                        ; implicit-def: $vgpr0_vgpr1
	s_and_saveexec_b64 s[14:15], s[0:1]
	s_cbranch_execz .LBB8_946
; %bb.931:
	s_waitcnt vmcnt(0)
	v_cmp_neq_f64_e32 vcc, 0, v[2:3]
	v_mov_b32_e32 v0, 0
	v_mov_b32_e32 v1, 0x7ff00000
	s_and_saveexec_b64 s[18:19], vcc
	s_cbranch_execz .LBB8_939
; %bb.932:
	v_cmp_ngt_f64_e32 vcc, 0, v[2:3]
	v_mov_b32_e32 v0, 0
	v_mov_b32_e32 v1, 0x7ff80000
	s_and_saveexec_b64 s[20:21], vcc
	s_cbranch_execz .LBB8_938
; %bb.933:
	v_cmp_ge_f64_e32 vcc, 2.0, v[2:3]
                                        ; implicit-def: $vgpr0_vgpr1
	s_and_saveexec_b64 s[0:1], vcc
	s_xor_b64 s[22:23], exec, s[0:1]
	s_cbranch_execz .LBB8_935
; %bb.934:
	v_fma_f64 v[0:1], v[2:3], 0.5, -2.0
	v_mov_b32_e32 v4, 0x977da589
	v_mov_b32_e32 v5, 0x3c833362
	s_mov_b32 s1, 0xbc545cb7
	s_mov_b32 s0, 0x2134d0ef
	;; [unrolled: 1-line block ×5, first 2 shown]
	v_fma_f64 v[4:5], v[0:1], s[0:1], v[4:5]
	s_mov_b32 s1, 0x3c545cb7
	s_mov_b32 s27, 0x3fc7474d
	;; [unrolled: 1-line block ×7, first 2 shown]
	v_fma_f64 v[6:7], v[0:1], v[4:5], s[0:1]
	s_mov_b32 s0, 0x721ebbb4
	s_mov_b32 s1, 0xbcb184eb
	;; [unrolled: 1-line block ×7, first 2 shown]
	v_add_f64 v[6:7], v[6:7], s[0:1]
	s_mov_b32 s0, 0x93f65eba
	s_mov_b32 s1, 0x3cdee6d8
	;; [unrolled: 1-line block ×7, first 2 shown]
	v_fma_f64 v[4:5], v[0:1], v[6:7], -v[4:5]
	s_mov_b32 s47, 0x3ff71547
	s_mov_b32 s42, 0x342d06ea
	;; [unrolled: 1-line block ×3, first 2 shown]
	v_add_f64 v[4:5], v[4:5], s[0:1]
	s_mov_b32 s0, 0xc297fbeb
	s_mov_b32 s1, 0xbd0a5022
	v_fma_f64 v[6:7], v[0:1], v[4:5], -v[6:7]
	v_add_f64 v[6:7], v[6:7], s[0:1]
	s_mov_b32 s0, 0x4b262627
	s_mov_b32 s1, 0x3d359b46
	v_fma_f64 v[4:5], v[0:1], v[6:7], -v[4:5]
	;; [unrolled: 4-line block ×4, first 2 shown]
	v_add_f64 v[8:9], v[4:5], s[0:1]
	v_mul_f64 v[4:5], v[2:3], 0.5
	s_mov_b32 s1, 0x3fe55555
	s_mov_b32 s0, 0x55555555
	v_fma_f64 v[6:7], v[0:1], v[8:9], -v[6:7]
	v_frexp_mant_f64_e32 v[10:11], v[4:5]
	v_frexp_exp_i32_f64_e32 v27, v[4:5]
	v_add_f64 v[6:7], v[6:7], s[24:25]
	v_cmp_gt_f64_e32 vcc, s[0:1], v[10:11]
	s_mov_b32 s24, 0xcc743c10
	s_mov_b32 s25, 0x3dda98be
	;; [unrolled: 1-line block ×3, first 2 shown]
	v_fma_f64 v[8:9], v[0:1], v[6:7], -v[8:9]
	v_cndmask_b32_e64 v12, 0, 1, vcc
	v_ldexp_f64 v[10:11], v[10:11], v12
	v_subbrev_co_u32_e32 v27, vcc, 0, v27, vcc
	v_cvt_f64_i32_e32 v[27:28], v27
	v_add_f64 v[8:9], v[8:9], s[24:25]
	s_mov_b32 s24, 0x13ae9556
	v_add_f64 v[12:13], v[10:11], 1.0
	s_mov_b32 s25, 0xbe01d4fe
	v_add_f64 v[18:19], v[10:11], -1.0
	v_fma_f64 v[6:7], v[0:1], v[8:9], -v[6:7]
	v_rcp_f64_e32 v[14:15], v[12:13]
	v_add_f64 v[20:21], v[12:13], -1.0
	v_add_f64 v[6:7], v[6:7], s[24:25]
	s_mov_b32 s24, 0xa454cb34
	s_mov_b32 s25, 0x3e26d903
	v_add_f64 v[10:11], v[10:11], -v[20:21]
	v_fma_f64 v[8:9], v[0:1], v[6:7], -v[8:9]
	v_fma_f64 v[16:17], -v[12:13], v[14:15], 1.0
	v_add_f64 v[8:9], v[8:9], s[24:25]
	s_mov_b32 s24, 0x8c0b30ab
	v_fma_f64 v[14:15], v[16:17], v[14:15], v[14:15]
	s_mov_b32 s25, 0xbe4beaf6
	v_fma_f64 v[6:7], v[0:1], v[8:9], -v[6:7]
	v_fma_f64 v[16:17], -v[12:13], v[14:15], 1.0
	v_fma_f64 v[14:15], v[16:17], v[14:15], v[14:15]
	v_add_f64 v[16:17], v[6:7], s[24:25]
	s_mov_b32 s24, 0x9d4d6435
	s_mov_b32 s25, 0x3e703b76
	v_mul_f64 v[6:7], v[18:19], v[14:15]
	v_fma_f64 v[8:9], v[0:1], v[16:17], -v[8:9]
	v_mul_f64 v[22:23], v[12:13], v[6:7]
	v_add_f64 v[8:9], v[8:9], s[24:25]
	s_mov_b32 s24, 0x8f227f8d
	s_mov_b32 s25, 0xbe91ec63
	v_fma_f64 v[12:13], v[6:7], v[12:13], -v[22:23]
	v_fma_f64 v[16:17], v[0:1], v[8:9], -v[16:17]
	v_fma_f64 v[10:11], v[6:7], v[10:11], v[12:13]
	v_add_f64 v[12:13], v[16:17], s[24:25]
	s_mov_b32 s24, 0x978cf4ac
	s_mov_b32 s25, 0x3eb2bf24
	v_add_f64 v[16:17], v[22:23], v[10:11]
	v_fma_f64 v[8:9], v[0:1], v[12:13], -v[8:9]
	v_add_f64 v[20:21], v[18:19], -v[16:17]
	v_add_f64 v[8:9], v[8:9], s[24:25]
	v_add_f64 v[22:23], v[16:17], -v[22:23]
	s_mov_b32 s24, 0xcba56427
	s_mov_b32 s25, 0xbed2866f
	v_add_f64 v[18:19], v[18:19], -v[20:21]
	v_fma_f64 v[12:13], v[0:1], v[8:9], -v[12:13]
	v_add_f64 v[10:11], v[22:23], -v[10:11]
	v_mov_b32_e32 v22, 0xc384c2aa
	v_mov_b32_e32 v23, 0x3d27fb0a
	v_add_f64 v[16:17], v[18:19], -v[16:17]
	v_add_f64 v[12:13], v[12:13], s[24:25]
	s_mov_b32 s24, 0xbe9a2859
	s_mov_b32 s25, 0x3ef13f58
	v_add_f64 v[10:11], v[10:11], v[16:17]
	v_fma_f64 v[8:9], v[0:1], v[12:13], -v[8:9]
	v_add_f64 v[10:11], v[20:21], v[10:11]
	v_add_f64 v[16:17], v[8:9], s[24:25]
	s_mov_b32 s24, 0x59c41d5a
	s_mov_b32 s25, 0xbf0e2b26
	v_mul_f64 v[8:9], v[14:15], v[10:11]
	v_fma_f64 v[12:13], v[0:1], v[16:17], -v[12:13]
	v_mov_b32_e32 v14, 0x6b47b09a
	v_mov_b32_e32 v15, 0x3fc38538
	v_add_f64 v[10:11], v[6:7], v[8:9]
	v_add_f64 v[18:19], v[12:13], s[24:25]
	s_mov_b32 s24, 0xbf559e2b
	s_mov_b32 s25, 0x3fc3ab76
	v_mul_f64 v[12:13], v[10:11], v[10:11]
	v_fma_f64 v[16:17], v[0:1], v[18:19], -v[16:17]
	v_add_f64 v[6:7], v[10:11], -v[6:7]
	v_fma_f64 v[14:15], v[12:13], s[24:25], v[14:15]
	s_mov_b32 s24, 0x74107cab
	s_mov_b32 s25, 0x3f28b51b
	v_add_f64 v[16:17], v[16:17], s[24:25]
	v_mul_f64 v[24:25], v[10:11], v[12:13]
	s_mov_b32 s25, 0x3fe62e42
	s_mov_b32 s24, 0xfefa39ef
	v_mul_f64 v[31:32], v[27:28], s[24:25]
	v_fma_f64 v[14:15], v[12:13], v[14:15], s[26:27]
	v_add_f64 v[8:9], v[8:9], -v[6:7]
	s_mov_b32 s27, 0x3c7abc9e
	v_fma_f64 v[18:19], v[0:1], v[16:17], -v[18:19]
	s_mov_b32 s26, 0x3b39803f
	v_fma_f64 v[14:15], v[12:13], v[14:15], s[30:31]
	s_mov_b32 s30, 0xf3dde3dd
	s_mov_b32 s31, 0x3f859961
	v_add_f64 v[18:19], v[18:19], s[34:35]
	v_ldexp_f64 v[8:9], v[8:9], 1
	s_mov_b32 s34, 0xf121b6f0
	s_mov_b32 s35, 0xbf984e9e
	v_fma_f64 v[20:21], v[12:13], v[14:15], s[38:39]
	v_fma_f64 v[14:15], v[2:3], v[2:3], -2.0
	s_mov_b32 s38, 0xcea8a32d
	v_fma_f64 v[16:17], v[0:1], v[18:19], -v[16:17]
	s_mov_b32 s39, 0x3fa93e8a
	v_fma_f64 v[20:21], v[12:13], v[20:21], s[28:29]
	v_fma_f64 v[22:23], v[14:15], s[44:45], v[22:23]
	s_mov_b32 s45, 0xbca3cee1
	v_add_f64 v[16:17], v[16:17], s[40:41]
	s_mov_b32 s40, 0x47512144
	s_mov_b32 s41, 0x3da6c25c
	;; [unrolled: 1-line block ×4, first 2 shown]
	v_fma_f64 v[12:13], v[12:13], v[20:21], s[0:1]
	v_ldexp_f64 v[20:21], v[10:11], 1
	v_fma_f64 v[29:30], v[14:15], v[22:23], s[44:45]
	v_fma_f64 v[18:19], v[0:1], v[16:17], -v[18:19]
	s_mov_b32 s0, 0x77ac88c0
	s_mov_b32 s1, 0x3fc5f7ac
	v_mul_f64 v[12:13], v[24:25], v[12:13]
	v_mul_f64 v[24:25], v[2:3], s[46:47]
	v_add_f64 v[18:19], v[18:19], s[36:37]
	s_mov_b32 s36, 0x67e58a13
	s_mov_b32 s37, 0x3e205c13
	v_add_f64 v[10:11], v[20:21], v[12:13]
	v_rndne_f64_e32 v[6:7], v[24:25]
	v_add_f64 v[24:25], v[29:30], s[40:41]
	v_fma_f64 v[16:17], v[0:1], v[18:19], -v[16:17]
	v_fma_f64 v[29:30], v[27:28], s[24:25], -v[31:32]
	s_mov_b32 s25, 0xbfe62e42
	v_add_f64 v[20:21], v[10:11], -v[20:21]
	v_fma_f64 v[2:3], v[6:7], s[24:25], v[2:3]
	v_fma_f64 v[22:23], v[14:15], v[24:25], -v[22:23]
	v_add_f64 v[16:17], v[16:17], s[30:31]
	v_fma_f64 v[27:28], v[27:28], s[26:27], v[29:30]
	s_mov_b32 s27, 0xbc7abc9e
	s_mov_b32 s24, 0x6a5dcb37
	;; [unrolled: 1-line block ×3, first 2 shown]
	v_add_f64 v[12:13], v[12:13], -v[20:21]
	v_fma_f64 v[2:3], v[6:7], s[26:27], v[2:3]
	v_mov_b32_e32 v20, 0xfca7ab0c
	v_fma_f64 v[18:19], v[0:1], v[16:17], -v[18:19]
	v_mov_b32_e32 v21, 0x3e928af3
	s_mov_b32 s26, 0x623fde64
	s_mov_b32 s27, 0x3ec71dee
	;; [unrolled: 1-line block ×3, first 2 shown]
	v_add_f64 v[8:9], v[8:9], v[12:13]
	v_fma_f64 v[20:21], v[2:3], s[24:25], v[20:21]
	s_mov_b32 s24, 0xe7f95efc
	v_add_f64 v[12:13], v[18:19], s[34:35]
	v_add_f64 v[18:19], v[22:23], s[36:37]
	;; [unrolled: 1-line block ×3, first 2 shown]
	s_mov_b32 s25, 0x3e9102bc
	s_mov_b32 s31, 0x3efa0199
	v_add_f64 v[29:30], v[10:11], v[8:9]
	v_fma_f64 v[20:21], v[2:3], v[20:21], s[26:27]
	s_mov_b32 s26, 0xfe8cfca0
	v_fma_f64 v[16:17], v[0:1], v[12:13], -v[16:17]
	v_fma_f64 v[24:25], v[14:15], v[18:19], -v[24:25]
	s_mov_b32 s27, 0x3ef7f900
	v_add_f64 v[31:32], v[22:23], -v[31:32]
	v_add_f64 v[33:34], v[22:23], v[29:30]
	v_fma_f64 v[20:21], v[2:3], v[20:21], s[30:31]
	v_add_f64 v[10:11], v[29:30], -v[10:11]
	v_add_f64 v[16:17], v[16:17], s[38:39]
	v_add_f64 v[24:25], v[24:25], s[24:25]
	s_mov_b32 s24, 0x14761f6e
	s_mov_b32 s25, 0x3f2a01a0
	;; [unrolled: 1-line block ×3, first 2 shown]
	v_add_f64 v[35:36], v[33:34], -v[22:23]
	v_fma_f64 v[20:21], v[2:3], v[20:21], s[24:25]
	s_mov_b32 s31, 0x3f56c16c
	v_fma_f64 v[12:13], v[0:1], v[16:17], -v[12:13]
	v_fma_f64 v[18:19], v[14:15], v[24:25], -v[18:19]
	v_add_f64 v[27:28], v[27:28], -v[31:32]
	v_add_f64 v[8:9], v[8:9], -v[10:11]
	s_mov_b32 s24, 0x11122322
	v_add_f64 v[37:38], v[33:34], -v[35:36]
	v_fma_f64 v[20:21], v[2:3], v[20:21], s[30:31]
	v_add_f64 v[10:11], v[29:30], -v[35:36]
	v_add_f64 v[12:13], v[12:13], s[42:43]
	v_add_f64 v[18:19], v[18:19], s[26:27]
	s_mov_b32 s25, 0x3f811111
	s_mov_b32 s26, 0x75633d73
	;; [unrolled: 1-line block ×3, first 2 shown]
	v_add_f64 v[22:23], v[22:23], -v[37:38]
	v_fma_f64 v[20:21], v[2:3], v[20:21], s[24:25]
	v_add_f64 v[29:30], v[27:28], v[8:9]
	v_fma_f64 v[16:17], v[0:1], v[12:13], -v[16:17]
	v_fma_f64 v[24:25], v[14:15], v[18:19], -v[24:25]
	s_mov_b32 s24, 0x55555511
	s_mov_b32 s25, 0x3fc55555
	v_add_f64 v[10:11], v[10:11], v[22:23]
	v_add_f64 v[16:17], v[16:17], s[0:1]
	;; [unrolled: 1-line block ×3, first 2 shown]
	s_mov_b32 s0, 0x555502a1
	s_mov_b32 s1, 0x3fa55555
	v_fma_f64 v[20:21], v[2:3], v[20:21], s[0:1]
	v_add_f64 v[24:25], v[29:30], -v[27:28]
	v_add_f64 v[10:11], v[29:30], v[10:11]
	s_mov_b32 s0, 0x554a9085
	v_fma_f64 v[12:13], v[0:1], v[16:17], -v[12:13]
	v_fma_f64 v[18:19], v[14:15], v[22:23], -v[18:19]
	s_mov_b32 s1, 0x3fa26bf6
	v_fma_f64 v[20:21], v[2:3], v[20:21], s[24:25]
	v_add_f64 v[29:30], v[29:30], -v[24:25]
	v_add_f64 v[31:32], v[33:34], v[10:11]
	v_add_f64 v[8:9], v[8:9], -v[24:25]
	v_add_f64 v[12:13], v[12:13], s[28:29]
	v_add_f64 v[18:19], v[18:19], s[0:1]
	s_mov_b32 s0, 11
	s_mov_b32 s1, 0x3fe00000
	v_fma_f64 v[20:21], v[2:3], v[20:21], s[0:1]
	v_add_f64 v[24:25], v[27:28], -v[29:30]
	v_add_f64 v[27:28], v[31:32], -v[33:34]
	s_mov_b32 s0, 0x9035a22a
	v_fma_f64 v[0:1], v[0:1], v[12:13], -v[16:17]
	v_fma_f64 v[12:13], v[14:15], v[18:19], -v[22:23]
	s_mov_b32 s1, 0x3fe5a84e
	s_mov_b32 s24, 0x81213db9
	v_fma_f64 v[20:21], v[2:3], v[20:21], 1.0
	s_mov_b32 s25, 0x3fd608d8
	v_add_f64 v[8:9], v[8:9], v[24:25]
	v_add_f64 v[10:11], v[10:11], -v[27:28]
	v_add_f64 v[0:1], v[0:1], s[0:1]
	v_add_f64 v[12:13], v[12:13], s[24:25]
	s_mov_b32 s0, 0xe9d2f61f
	s_mov_b32 s24, 0
	v_fma_f64 v[2:3], v[2:3], v[20:21], 1.0
	s_mov_b32 s1, 0xbfe12166
	s_mov_b32 s25, 0x7ff00000
	v_add_f64 v[8:9], v[8:9], v[10:11]
	v_add_f64 v[0:1], v[0:1], -v[16:17]
	v_fma_f64 v[10:11], v[14:15], v[12:13], -v[18:19]
	v_cvt_i32_f64_e32 v12, v[6:7]
	v_cmp_neq_f64_e32 vcc, s[24:25], v[4:5]
	v_ldexp_f64 v[2:3], v[2:3], v12
	v_add_f64 v[6:7], v[31:32], v[8:9]
	v_mul_f64 v[0:1], v[0:1], 0.5
	v_add_f64 v[8:9], v[10:11], s[0:1]
	v_cmp_neq_f64_e64 s[0:1], 0, v[4:5]
	v_mov_b32_e32 v10, 0x7ff00000
	v_cndmask_b32_e32 v7, v10, v7, vcc
	v_mul_f64 v[0:1], v[2:3], v[0:1]
	v_mov_b32_e32 v10, 0xfff00000
	s_and_b64 vcc, s[0:1], vcc
	v_cndmask_b32_e64 v7, v10, v7, s[0:1]
	v_cndmask_b32_e32 v6, 0, v6, vcc
	v_add_f64 v[4:5], v[8:9], -v[18:19]
	v_mul_f64 v[0:1], v[6:7], v[0:1]
	v_fma_f64 v[0:1], v[4:5], 0.5, -v[0:1]
	v_mul_f64 v[0:1], v[2:3], v[0:1]
                                        ; implicit-def: $vgpr2_vgpr3
.LBB8_935:
	s_andn2_saveexec_b64 s[0:1], s[22:23]
	s_cbranch_execz .LBB8_937
; %bb.936:
	s_mov_b32 s22, 0
	s_mov_b32 s23, 0x40200000
	v_div_scale_f64 v[0:1], s[24:25], v[2:3], v[2:3], s[22:23]
	v_rcp_f64_e32 v[4:5], v[0:1]
	v_fma_f64 v[6:7], -v[0:1], v[4:5], 1.0
	v_fma_f64 v[4:5], v[4:5], v[6:7], v[4:5]
	v_div_scale_f64 v[6:7], vcc, s[22:23], v[2:3], s[22:23]
	v_fma_f64 v[8:9], -v[0:1], v[4:5], 1.0
	v_fma_f64 v[4:5], v[4:5], v[8:9], v[4:5]
	v_mul_f64 v[8:9], v[6:7], v[4:5]
	v_fma_f64 v[0:1], -v[0:1], v[8:9], v[6:7]
	v_div_fmas_f64 v[0:1], v[0:1], v[4:5], v[8:9]
	v_mov_b32_e32 v4, 0x93812603
	v_mov_b32_e32 v5, 0xbc72fecc
	;; [unrolled: 1-line block ×3, first 2 shown]
	v_div_fixup_f64 v[0:1], v[0:1], v[2:3], s[22:23]
	s_mov_b32 s23, 0x3c5871a5
	s_mov_b32 s22, 0xcf8c9ee1
	v_add_f64 v[0:1], v[0:1], -2.0
	v_fma_f64 v[4:5], v[0:1], s[22:23], v[4:5]
	s_mov_b32 s23, 0xbc5871a5
	v_fma_f64 v[6:7], v[0:1], v[4:5], s[22:23]
	s_mov_b32 s22, 0x41a8cdf4
	s_mov_b32 s23, 0x3c8e092e
	v_add_f64 v[6:7], v[6:7], s[22:23]
	s_mov_b32 s22, 0x74d77641
	s_mov_b32 s23, 0xbca82f94
	v_fma_f64 v[4:5], v[0:1], v[6:7], -v[4:5]
	v_add_f64 v[4:5], v[4:5], s[22:23]
	s_mov_b32 s22, 0x6b94785b
	s_mov_b32 s23, 0x3cc3dbf9
	v_fma_f64 v[6:7], v[0:1], v[4:5], -v[6:7]
	;; [unrolled: 4-line block ×17, first 2 shown]
	v_add_f64 v[4:5], v[4:5], s[22:23]
	s_mov_b32 s22, 0
	s_brev_b32 s23, 8
	v_cmp_gt_f64_e32 vcc, s[22:23], v[2:3]
	s_mov_b32 s22, 0xcc7470a9
	s_mov_b32 s23, 0x3eed413f
	v_fma_f64 v[6:7], v[0:1], v[4:5], -v[6:7]
	v_cndmask_b32_e32 v8, 0, v8, vcc
	v_ldexp_f64 v[2:3], v[2:3], v8
	v_add_f64 v[6:7], v[6:7], s[22:23]
	s_mov_b32 s22, 0xe7889f42
	s_mov_b32 s23, 0xbf20d797
	v_rsq_f64_e32 v[8:9], v[2:3]
	v_fma_f64 v[4:5], v[0:1], v[6:7], -v[4:5]
	v_add_f64 v[4:5], v[4:5], s[22:23]
	s_mov_b32 s22, 0xfca79342
	s_mov_b32 s23, 0x3f59b891
	v_mul_f64 v[10:11], v[2:3], v[8:9]
	v_mul_f64 v[8:9], v[8:9], 0.5
	v_fma_f64 v[6:7], v[0:1], v[4:5], -v[6:7]
	v_fma_f64 v[12:13], -v[8:9], v[10:11], 0.5
	v_add_f64 v[6:7], v[6:7], s[22:23]
	s_mov_b32 s22, 0x2d4ff71e
	s_mov_b32 s23, 0xbfa019f7
	v_fma_f64 v[10:11], v[10:11], v[12:13], v[10:11]
	v_fma_f64 v[8:9], v[8:9], v[12:13], v[8:9]
	v_fma_f64 v[4:5], v[0:1], v[6:7], -v[4:5]
	v_fma_f64 v[12:13], -v[10:11], v[10:11], v[2:3]
	v_add_f64 v[4:5], v[4:5], s[22:23]
	s_mov_b32 s22, 0x9f4e6907
	s_mov_b32 s23, 0x400385bd
	v_fma_f64 v[10:11], v[12:13], v[8:9], v[10:11]
	v_fma_f64 v[0:1], v[0:1], v[4:5], -v[6:7]
	v_fma_f64 v[4:5], -v[10:11], v[10:11], v[2:3]
	v_add_f64 v[0:1], v[0:1], s[22:23]
	v_fma_f64 v[4:5], v[4:5], v[8:9], v[10:11]
	v_add_f64 v[0:1], v[0:1], -v[6:7]
	v_mov_b32_e32 v6, 0xffffff80
	v_mov_b32_e32 v7, 0x260
	v_cndmask_b32_e32 v6, 0, v6, vcc
	v_cmp_class_f64_e32 vcc, v[2:3], v7
	v_ldexp_f64 v[4:5], v[4:5], v6
	v_mul_f64 v[0:1], v[0:1], 0.5
	v_cndmask_b32_e32 v3, v5, v3, vcc
	v_cndmask_b32_e32 v2, v4, v2, vcc
	v_div_scale_f64 v[4:5], s[22:23], v[2:3], v[2:3], v[0:1]
	v_div_scale_f64 v[10:11], vcc, v[0:1], v[2:3], v[0:1]
	v_rcp_f64_e32 v[6:7], v[4:5]
	v_fma_f64 v[8:9], -v[4:5], v[6:7], 1.0
	v_fma_f64 v[6:7], v[6:7], v[8:9], v[6:7]
	v_fma_f64 v[8:9], -v[4:5], v[6:7], 1.0
	v_fma_f64 v[6:7], v[6:7], v[8:9], v[6:7]
	v_mul_f64 v[8:9], v[10:11], v[6:7]
	v_fma_f64 v[4:5], -v[4:5], v[8:9], v[10:11]
	v_div_fmas_f64 v[4:5], v[4:5], v[6:7], v[8:9]
	v_div_fixup_f64 v[0:1], v[4:5], v[2:3], v[0:1]
.LBB8_937:
	s_or_b64 exec, exec, s[0:1]
.LBB8_938:
	s_or_b64 exec, exec, s[20:21]
.LBB8_939:
	s_or_b64 exec, exec, s[18:19]
	v_mul_lo_u32 v2, v26, s2
	v_mov_b32_e32 v3, s9
	s_and_b32 s26, s33, 0xff
	s_cmp_lt_i32 s26, 11
	v_ashrrev_i32_e32 v5, 31, v2
	v_add_co_u32_e32 v4, vcc, s8, v2
	v_addc_co_u32_e32 v5, vcc, v3, v5, vcc
	s_cbranch_scc1 .LBB8_949
; %bb.940:
	s_and_b32 s27, 0xffff, s26
	s_mov_b64 s[20:21], -1
	s_cmp_gt_i32 s27, 25
	s_mov_b64 s[0:1], s[6:7]
	s_cbranch_scc0 .LBB8_977
; %bb.941:
	s_mov_b64 s[18:19], -1
	s_cmp_gt_i32 s27, 28
	s_mov_b64 s[0:1], s[6:7]
	s_cbranch_scc0 .LBB8_961
; %bb.942:
	s_cmp_gt_i32 s27, 43
	s_mov_b64 s[0:1], s[6:7]
	s_cbranch_scc0 .LBB8_957
; %bb.943:
	;; [unrolled: 4-line block ×3, first 2 shown]
	s_cmp_eq_u32 s27, 46
	s_mov_b64 s[0:1], -1
	s_cbranch_scc0 .LBB8_950
; %bb.945:
	v_cvt_f32_f64_e32 v2, v[0:1]
	s_movk_i32 s0, 0x7fff
	v_mov_b32_e32 v3, 0x7fc0
	s_mov_b64 s[18:19], 0
	v_bfe_u32 v6, v2, 16, 1
	v_cmp_o_f32_e32 vcc, v2, v2
	v_add3_u32 v2, v2, v6, s0
	v_cndmask_b32_sdwa v2, v3, v2, vcc dst_sel:DWORD dst_unused:UNUSED_PAD src0_sel:DWORD src1_sel:WORD_1
	global_store_dword v[4:5], v2, off
	s_mov_b64 s[0:1], 0
	s_branch .LBB8_951
.LBB8_946:
	s_or_b64 exec, exec, s[14:15]
	s_and_saveexec_b64 s[0:1], s[6:7]
	s_cbranch_execnz .LBB8_1019
.LBB8_947:
	s_or_b64 exec, exec, s[0:1]
	s_and_saveexec_b64 s[0:1], s[20:21]
	s_xor_b64 s[0:1], exec, s[0:1]
	s_cbranch_execz .LBB8_1020
.LBB8_948:
	v_cmp_neq_f64_e32 vcc, 0, v[0:1]
	s_waitcnt vmcnt(0)
	v_cndmask_b32_e64 v2, 0, 1, vcc
	global_store_byte v[4:5], v2, off
	s_or_b64 exec, exec, s[0:1]
	s_and_saveexec_b64 s[0:1], s[18:19]
	s_xor_b64 s[0:1], exec, s[0:1]
	s_cbranch_execz .LBB8_1058
	s_branch .LBB8_1021
.LBB8_949:
	s_mov_b64 s[20:21], 0
	s_mov_b64 s[18:19], -1
	s_mov_b64 s[0:1], s[6:7]
	s_branch .LBB8_1018
.LBB8_950:
	s_mov_b64 s[18:19], 0
.LBB8_951:
	s_and_b64 vcc, exec, s[18:19]
	s_cbranch_vccz .LBB8_956
; %bb.952:
	s_cmp_eq_u32 s27, 44
	s_mov_b64 s[0:1], -1
	s_cbranch_scc0 .LBB8_956
; %bb.953:
	v_cvt_f32_f64_e32 v2, v[0:1]
	s_movk_i32 s0, 0xff
	v_mov_b32_e32 v6, 0xff
	v_bfe_u32 v3, v2, 23, 8
	v_cmp_ne_u32_e32 vcc, s0, v3
	s_and_saveexec_b64 s[18:19], vcc
; %bb.954:
	s_mov_b32 s0, 0x3fffff
	v_lshrrev_b32_e32 v6, 23, v2
	v_and_b32_e32 v7, 0x400000, v2
	v_and_or_b32 v2, v2, s0, v3
	v_cmp_ne_u32_e32 vcc, 0, v7
	v_cmp_ne_u32_e64 s[0:1], 0, v2
	s_and_b64 s[0:1], vcc, s[0:1]
	v_cndmask_b32_e64 v2, 0, 1, s[0:1]
	v_add_u32_e32 v6, v6, v2
; %bb.955:
	s_or_b64 exec, exec, s[18:19]
	s_mov_b64 s[0:1], 0
	global_store_byte v[4:5], v6, off
.LBB8_956:
	s_mov_b64 s[18:19], 0
.LBB8_957:
	s_and_b64 vcc, exec, s[18:19]
	s_cbranch_vccz .LBB8_960
; %bb.958:
	s_cmp_eq_u32 s27, 29
	s_mov_b64 s[0:1], -1
	s_cbranch_scc0 .LBB8_960
; %bb.959:
	v_trunc_f64_e32 v[2:3], v[0:1]
	s_movk_i32 s0, 0xffe0
	s_mov_b64 s[18:19], 0
	v_ldexp_f64 v[6:7], v[2:3], s0
	s_mov_b32 s0, 0
	s_mov_b32 s1, 0xc1f00000
	v_floor_f64_e32 v[6:7], v[6:7]
	v_fma_f64 v[2:3], v[6:7], s[0:1], v[2:3]
	v_cvt_u32_f64_e32 v7, v[6:7]
	s_mov_b64 s[0:1], 0
	v_cvt_u32_f64_e32 v6, v[2:3]
	global_store_dwordx2 v[4:5], v[6:7], off
	s_branch .LBB8_961
.LBB8_960:
	s_mov_b64 s[18:19], 0
.LBB8_961:
	s_and_b64 vcc, exec, s[18:19]
	s_cbranch_vccz .LBB8_976
; %bb.962:
	s_cmp_lt_i32 s27, 27
	s_mov_b64 s[18:19], -1
	s_cbranch_scc1 .LBB8_968
; %bb.963:
	v_cvt_u32_f64_e32 v2, v[0:1]
	s_cmp_gt_i32 s27, 27
	s_cbranch_scc0 .LBB8_965
; %bb.964:
	s_mov_b64 s[18:19], 0
	global_store_dword v[4:5], v2, off
.LBB8_965:
	s_andn2_b64 vcc, exec, s[18:19]
	s_cbranch_vccnz .LBB8_967
; %bb.966:
	global_store_short v[4:5], v2, off
.LBB8_967:
	s_mov_b64 s[18:19], 0
.LBB8_968:
	s_andn2_b64 vcc, exec, s[18:19]
	s_cbranch_vccnz .LBB8_976
; %bb.969:
	v_cvt_f32_f64_e32 v2, v[0:1]
	s_mov_b32 s18, 0x43800000
	v_mov_b32_e32 v6, 0x80
	v_and_b32_e32 v3, 0x7fffffff, v2
	v_cmp_gt_u32_e32 vcc, s18, v3
	s_and_saveexec_b64 s[18:19], vcc
	s_cbranch_execz .LBB8_975
; %bb.970:
	s_mov_b32 s20, 0x3bffffff
	v_cmp_lt_u32_e32 vcc, s20, v3
	s_mov_b64 s[20:21], 0
                                        ; implicit-def: $vgpr3
	s_and_saveexec_b64 s[22:23], vcc
	s_xor_b64 s[22:23], exec, s[22:23]
	s_cbranch_execz .LBB8_1073
; %bb.971:
	v_bfe_u32 v3, v2, 20, 1
	s_mov_b32 s24, 0x487ffff
	v_add3_u32 v3, v2, v3, s24
	s_mov_b64 s[20:21], exec
	v_lshrrev_b32_e32 v3, 20, v3
	s_andn2_saveexec_b64 s[22:23], s[22:23]
	s_cbranch_execnz .LBB8_1074
.LBB8_972:
	s_or_b64 exec, exec, s[22:23]
	v_mov_b32_e32 v6, 0
	s_and_saveexec_b64 s[22:23], s[20:21]
.LBB8_973:
	v_lshrrev_b32_e32 v2, 24, v2
	s_movk_i32 s20, 0x80
	v_and_or_b32 v6, v2, s20, v3
.LBB8_974:
	s_or_b64 exec, exec, s[22:23]
.LBB8_975:
	s_or_b64 exec, exec, s[18:19]
	global_store_byte v[4:5], v6, off
.LBB8_976:
	s_mov_b64 s[20:21], 0
.LBB8_977:
	s_mov_b64 s[18:19], 0
	s_and_b64 vcc, exec, s[20:21]
	s_cbranch_vccz .LBB8_1017
; %bb.978:
	s_cmp_gt_i32 s27, 22
	s_mov_b64 s[20:21], -1
	s_cbranch_scc0 .LBB8_1010
; %bb.979:
	s_cmp_lt_i32 s27, 24
	s_cbranch_scc1 .LBB8_999
; %bb.980:
	s_cmp_gt_i32 s27, 24
	s_cbranch_scc0 .LBB8_988
; %bb.981:
	v_cvt_f32_f64_e32 v2, v[0:1]
	s_mov_b32 s20, 0x47800000
	v_mov_b32_e32 v6, 0x80
	v_and_b32_e32 v3, 0x7fffffff, v2
	v_cmp_gt_u32_e32 vcc, s20, v3
	s_and_saveexec_b64 s[20:21], vcc
	s_cbranch_execz .LBB8_987
; %bb.982:
	s_mov_b32 s22, 0x37ffffff
	v_cmp_lt_u32_e32 vcc, s22, v3
	s_mov_b64 s[22:23], 0
                                        ; implicit-def: $vgpr3
	s_and_saveexec_b64 s[24:25], vcc
	s_xor_b64 s[24:25], exec, s[24:25]
	s_cbranch_execz .LBB8_1206
; %bb.983:
	v_bfe_u32 v3, v2, 21, 1
	s_mov_b32 s28, 0x88fffff
	v_add3_u32 v3, v2, v3, s28
	s_mov_b64 s[22:23], exec
	v_lshrrev_b32_e32 v3, 21, v3
	s_andn2_saveexec_b64 s[24:25], s[24:25]
	s_cbranch_execnz .LBB8_1207
.LBB8_984:
	s_or_b64 exec, exec, s[24:25]
	v_mov_b32_e32 v6, 0
	s_and_saveexec_b64 s[24:25], s[22:23]
.LBB8_985:
	v_lshrrev_b32_e32 v2, 24, v2
	s_movk_i32 s22, 0x80
	v_and_or_b32 v6, v2, s22, v3
.LBB8_986:
	s_or_b64 exec, exec, s[24:25]
.LBB8_987:
	s_or_b64 exec, exec, s[20:21]
	s_mov_b64 s[20:21], 0
	global_store_byte v[4:5], v6, off
.LBB8_988:
	s_and_b64 vcc, exec, s[20:21]
	s_cbranch_vccz .LBB8_998
; %bb.989:
	v_cvt_f32_f64_e32 v2, v[0:1]
	s_mov_b32 s20, 0x43f00000
                                        ; implicit-def: $vgpr3
	v_and_b32_e32 v6, 0x7fffffff, v2
	v_cmp_gt_u32_e32 vcc, s20, v6
	s_and_saveexec_b64 s[20:21], vcc
	s_xor_b64 s[20:21], exec, s[20:21]
	s_cbranch_execz .LBB8_995
; %bb.990:
	s_mov_b32 s22, 0x3c7fffff
	v_cmp_lt_u32_e32 vcc, s22, v6
                                        ; implicit-def: $vgpr3
	s_and_saveexec_b64 s[22:23], vcc
	s_xor_b64 s[22:23], exec, s[22:23]
; %bb.991:
	v_bfe_u32 v3, v2, 20, 1
	s_mov_b32 s24, 0x407ffff
	v_add3_u32 v3, v2, v3, s24
	v_lshrrev_b32_e32 v6, 20, v3
	v_and_b32_e32 v3, 0xff00000, v3
	s_mov_b32 s24, 0x7f00000
	v_mov_b32_e32 v7, 0x7e
	v_cmp_ne_u32_e32 vcc, s24, v3
	v_cndmask_b32_e32 v3, v7, v6, vcc
; %bb.992:
	s_andn2_saveexec_b64 s[22:23], s[22:23]
; %bb.993:
	s_mov_b32 s24, 0x46800000
	v_add_f32_e64 v3, |v2|, s24
; %bb.994:
	s_or_b64 exec, exec, s[22:23]
                                        ; implicit-def: $vgpr6
.LBB8_995:
	s_andn2_saveexec_b64 s[20:21], s[20:21]
; %bb.996:
	s_mov_b32 s22, 0x7f800000
	v_mov_b32_e32 v3, 0x7e
	v_mov_b32_e32 v7, 0x7f
	v_cmp_lt_u32_e32 vcc, s22, v6
	v_cndmask_b32_e32 v3, v3, v7, vcc
; %bb.997:
	s_or_b64 exec, exec, s[20:21]
	v_lshrrev_b32_e32 v2, 24, v2
	s_movk_i32 s20, 0x80
	v_and_or_b32 v2, v2, s20, v3
	global_store_byte v[4:5], v2, off
.LBB8_998:
	s_mov_b64 s[20:21], 0
.LBB8_999:
	s_andn2_b64 vcc, exec, s[20:21]
	s_cbranch_vccnz .LBB8_1009
; %bb.1000:
	v_cvt_f32_f64_e32 v2, v[0:1]
	s_mov_b32 s20, 0x47800000
                                        ; implicit-def: $vgpr3
	v_and_b32_e32 v6, 0x7fffffff, v2
	v_cmp_gt_u32_e32 vcc, s20, v6
	s_and_saveexec_b64 s[20:21], vcc
	s_xor_b64 s[20:21], exec, s[20:21]
	s_cbranch_execz .LBB8_1006
; %bb.1001:
	s_mov_b32 s22, 0x387fffff
	v_cmp_lt_u32_e32 vcc, s22, v6
                                        ; implicit-def: $vgpr3
	s_and_saveexec_b64 s[22:23], vcc
	s_xor_b64 s[22:23], exec, s[22:23]
; %bb.1002:
	v_bfe_u32 v3, v2, 21, 1
	s_mov_b32 s24, 0x80fffff
	v_add3_u32 v3, v2, v3, s24
	v_lshrrev_b32_e32 v3, 21, v3
; %bb.1003:
	s_andn2_saveexec_b64 s[22:23], s[22:23]
; %bb.1004:
	s_mov_b32 s24, 0x43000000
	v_add_f32_e64 v3, |v2|, s24
; %bb.1005:
	s_or_b64 exec, exec, s[22:23]
                                        ; implicit-def: $vgpr6
.LBB8_1006:
	s_andn2_saveexec_b64 s[20:21], s[20:21]
; %bb.1007:
	s_mov_b32 s22, 0x7f800000
	v_mov_b32_e32 v3, 0x7c
	v_mov_b32_e32 v7, 0x7f
	v_cmp_lt_u32_e32 vcc, s22, v6
	v_cndmask_b32_e32 v3, v3, v7, vcc
; %bb.1008:
	s_or_b64 exec, exec, s[20:21]
	v_lshrrev_b32_e32 v2, 24, v2
	s_movk_i32 s20, 0x80
	v_and_or_b32 v2, v2, s20, v3
	global_store_byte v[4:5], v2, off
.LBB8_1009:
	s_mov_b64 s[20:21], 0
.LBB8_1010:
	s_andn2_b64 vcc, exec, s[20:21]
	s_mov_b64 s[20:21], 0
	s_cbranch_vccnz .LBB8_1018
; %bb.1011:
	s_cmp_gt_i32 s27, 14
	s_mov_b64 s[22:23], -1
	s_cbranch_scc0 .LBB8_1015
; %bb.1012:
	s_cmp_eq_u32 s27, 15
	s_mov_b64 s[0:1], -1
	s_cbranch_scc0 .LBB8_1014
; %bb.1013:
	v_cvt_f32_f64_e32 v2, v[0:1]
	s_movk_i32 s0, 0x7fff
	v_mov_b32_e32 v3, 0x7fc0
	v_bfe_u32 v6, v2, 16, 1
	v_cmp_o_f32_e32 vcc, v2, v2
	v_add3_u32 v2, v2, v6, s0
	v_cndmask_b32_sdwa v2, v3, v2, vcc dst_sel:DWORD dst_unused:UNUSED_PAD src0_sel:DWORD src1_sel:WORD_1
	global_store_short v[4:5], v2, off
	s_mov_b64 s[0:1], 0
.LBB8_1014:
	s_mov_b64 s[22:23], 0
.LBB8_1015:
	s_and_b64 vcc, exec, s[22:23]
	s_cbranch_vccz .LBB8_1018
; %bb.1016:
	s_cmp_lg_u32 s27, 11
	s_cselect_b64 s[22:23], -1, 0
	s_andn2_b64 s[0:1], s[0:1], exec
	s_and_b64 s[22:23], s[22:23], exec
	s_mov_b64 s[20:21], -1
	s_or_b64 s[0:1], s[0:1], s[22:23]
	s_branch .LBB8_1018
.LBB8_1017:
	s_mov_b64 s[20:21], 0
.LBB8_1018:
	s_andn2_b64 s[6:7], s[6:7], exec
	s_and_b64 s[0:1], s[0:1], exec
	s_and_b64 s[18:19], s[18:19], exec
	;; [unrolled: 1-line block ×3, first 2 shown]
	s_or_b64 s[6:7], s[6:7], s[0:1]
	s_or_b64 exec, exec, s[14:15]
	s_and_saveexec_b64 s[0:1], s[6:7]
	s_cbranch_execz .LBB8_947
.LBB8_1019:
	s_or_b64 s[16:17], s[16:17], exec
	s_andn2_b64 s[20:21], s[20:21], exec
	s_trap 2
	s_or_b64 exec, exec, s[0:1]
	s_and_saveexec_b64 s[0:1], s[20:21]
	s_xor_b64 s[0:1], exec, s[0:1]
	s_cbranch_execnz .LBB8_948
.LBB8_1020:
	s_or_b64 exec, exec, s[0:1]
	s_and_saveexec_b64 s[0:1], s[18:19]
	s_xor_b64 s[0:1], exec, s[0:1]
	s_cbranch_execz .LBB8_1058
.LBB8_1021:
	s_sext_i32_i16 s14, s26
	s_cmp_lt_i32 s14, 5
	s_mov_b64 s[6:7], -1
	s_cbranch_scc1 .LBB8_1042
; %bb.1022:
	s_cmp_lt_i32 s14, 8
	s_cbranch_scc1 .LBB8_1032
; %bb.1023:
	s_cmp_lt_i32 s14, 9
	s_cbranch_scc1 .LBB8_1029
; %bb.1024:
	s_cmp_gt_i32 s14, 9
	s_cbranch_scc0 .LBB8_1026
; %bb.1025:
	s_waitcnt vmcnt(0)
	v_mov_b32_e32 v2, 0
	v_mov_b32_e32 v3, v2
	s_mov_b64 s[6:7], 0
	global_store_dwordx4 v[4:5], v[0:3], off
.LBB8_1026:
	s_andn2_b64 vcc, exec, s[6:7]
	s_cbranch_vccnz .LBB8_1028
; %bb.1027:
	s_waitcnt vmcnt(0)
	v_cvt_f32_f64_e32 v2, v[0:1]
	v_mov_b32_e32 v3, 0
	global_store_dwordx2 v[4:5], v[2:3], off
.LBB8_1028:
	s_mov_b64 s[6:7], 0
.LBB8_1029:
	s_andn2_b64 vcc, exec, s[6:7]
	s_cbranch_vccnz .LBB8_1031
; %bb.1030:
	s_movk_i32 s6, 0x1ff
	s_waitcnt vmcnt(0)
	v_and_or_b32 v2, v1, s6, v0
	v_cmp_ne_u32_e32 vcc, 0, v2
	v_cndmask_b32_e64 v2, 0, 1, vcc
	v_lshrrev_b32_e32 v3, 8, v1
	s_movk_i32 s6, 0xffe
	v_bfe_u32 v6, v1, 20, 11
	v_and_or_b32 v2, v3, s6, v2
	v_sub_u32_e32 v7, 0x3f1, v6
	v_or_b32_e32 v3, 0x1000, v2
	v_med3_i32 v7, v7, 0, 13
	v_lshrrev_b32_e32 v8, v7, v3
	v_lshlrev_b32_e32 v7, v7, v8
	v_cmp_ne_u32_e32 vcc, v7, v3
	v_cndmask_b32_e64 v3, 0, 1, vcc
	v_add_u32_e32 v6, 0xfffffc10, v6
	v_or_b32_e32 v3, v8, v3
	v_lshl_or_b32 v7, v6, 12, v2
	v_cmp_gt_i32_e32 vcc, 1, v6
	v_cndmask_b32_e32 v3, v7, v3, vcc
	v_and_b32_e32 v7, 7, v3
	v_cmp_lt_i32_e32 vcc, 5, v7
	v_cndmask_b32_e64 v8, 0, 1, vcc
	v_cmp_eq_u32_e32 vcc, 3, v7
	v_cndmask_b32_e64 v7, 0, 1, vcc
	v_or_b32_e32 v7, v7, v8
	v_lshrrev_b32_e32 v3, 2, v3
	v_add_u32_e32 v3, v3, v7
	v_mov_b32_e32 v7, 0x7c00
	v_cmp_gt_i32_e32 vcc, 31, v6
	v_cndmask_b32_e32 v3, v7, v3, vcc
	v_mov_b32_e32 v8, 0x7e00
	v_cmp_ne_u32_e32 vcc, 0, v2
	s_movk_i32 s6, 0x40f
	v_cndmask_b32_e32 v2, v7, v8, vcc
	v_cmp_eq_u32_e32 vcc, s6, v6
	v_cndmask_b32_e32 v2, v3, v2, vcc
	v_lshrrev_b32_e32 v3, 16, v1
	s_mov_b32 s6, 0x8000
	v_and_or_b32 v2, v3, s6, v2
	v_and_b32_e32 v2, 0xffff, v2
	global_store_dword v[4:5], v2, off
.LBB8_1031:
	s_mov_b64 s[6:7], 0
.LBB8_1032:
	s_andn2_b64 vcc, exec, s[6:7]
	s_cbranch_vccnz .LBB8_1041
; %bb.1033:
	s_sext_i32_i16 s14, s26
	s_cmp_lt_i32 s14, 6
	s_mov_b64 s[6:7], -1
	s_cbranch_scc1 .LBB8_1039
; %bb.1034:
	s_cmp_gt_i32 s14, 6
	s_cbranch_scc0 .LBB8_1036
; %bb.1035:
	s_mov_b64 s[6:7], 0
	global_store_dwordx2 v[4:5], v[0:1], off
.LBB8_1036:
	s_andn2_b64 vcc, exec, s[6:7]
	s_cbranch_vccnz .LBB8_1038
; %bb.1037:
	s_waitcnt vmcnt(0)
	v_cvt_f32_f64_e32 v2, v[0:1]
	global_store_dword v[4:5], v2, off
.LBB8_1038:
	s_mov_b64 s[6:7], 0
.LBB8_1039:
	s_andn2_b64 vcc, exec, s[6:7]
	s_cbranch_vccnz .LBB8_1041
; %bb.1040:
	s_movk_i32 s6, 0x1ff
	s_waitcnt vmcnt(0)
	v_and_or_b32 v2, v1, s6, v0
	v_cmp_ne_u32_e32 vcc, 0, v2
	v_cndmask_b32_e64 v2, 0, 1, vcc
	v_lshrrev_b32_e32 v3, 8, v1
	s_movk_i32 s6, 0xffe
	v_bfe_u32 v6, v1, 20, 11
	v_and_or_b32 v2, v3, s6, v2
	v_sub_u32_e32 v7, 0x3f1, v6
	v_or_b32_e32 v3, 0x1000, v2
	v_med3_i32 v7, v7, 0, 13
	v_lshrrev_b32_e32 v8, v7, v3
	v_lshlrev_b32_e32 v7, v7, v8
	v_cmp_ne_u32_e32 vcc, v7, v3
	v_cndmask_b32_e64 v3, 0, 1, vcc
	v_add_u32_e32 v6, 0xfffffc10, v6
	v_or_b32_e32 v3, v8, v3
	v_lshl_or_b32 v7, v6, 12, v2
	v_cmp_gt_i32_e32 vcc, 1, v6
	v_cndmask_b32_e32 v3, v7, v3, vcc
	v_and_b32_e32 v7, 7, v3
	v_cmp_lt_i32_e32 vcc, 5, v7
	v_cndmask_b32_e64 v8, 0, 1, vcc
	v_cmp_eq_u32_e32 vcc, 3, v7
	v_cndmask_b32_e64 v7, 0, 1, vcc
	v_or_b32_e32 v7, v7, v8
	v_lshrrev_b32_e32 v3, 2, v3
	v_add_u32_e32 v3, v3, v7
	v_mov_b32_e32 v7, 0x7c00
	v_cmp_gt_i32_e32 vcc, 31, v6
	v_cndmask_b32_e32 v3, v7, v3, vcc
	v_mov_b32_e32 v8, 0x7e00
	v_cmp_ne_u32_e32 vcc, 0, v2
	s_movk_i32 s6, 0x40f
	v_cndmask_b32_e32 v2, v7, v8, vcc
	v_cmp_eq_u32_e32 vcc, s6, v6
	v_cndmask_b32_e32 v2, v3, v2, vcc
	v_lshrrev_b32_e32 v3, 16, v1
	s_mov_b32 s6, 0x8000
	v_and_or_b32 v2, v3, s6, v2
	global_store_short v[4:5], v2, off
.LBB8_1041:
	s_mov_b64 s[6:7], 0
.LBB8_1042:
	s_andn2_b64 vcc, exec, s[6:7]
	s_cbranch_vccnz .LBB8_1058
; %bb.1043:
	s_sext_i32_i16 s14, s26
	s_cmp_lt_i32 s14, 2
	s_mov_b64 s[6:7], -1
	s_cbranch_scc1 .LBB8_1053
; %bb.1044:
	s_cmp_lt_i32 s14, 3
	s_cbranch_scc1 .LBB8_1050
; %bb.1045:
	s_cmp_gt_i32 s14, 3
	s_cbranch_scc0 .LBB8_1047
; %bb.1046:
	s_waitcnt vmcnt(0)
	v_trunc_f64_e32 v[2:3], v[0:1]
	s_movk_i32 s6, 0xffe0
	v_ldexp_f64 v[6:7], v[2:3], s6
	s_mov_b32 s6, 0
	s_mov_b32 s7, 0xc1f00000
	v_floor_f64_e32 v[6:7], v[6:7]
	v_fma_f64 v[2:3], v[6:7], s[6:7], v[2:3]
	v_cvt_i32_f64_e32 v7, v[6:7]
	s_mov_b64 s[6:7], 0
	v_cvt_u32_f64_e32 v6, v[2:3]
	global_store_dwordx2 v[4:5], v[6:7], off
.LBB8_1047:
	s_andn2_b64 vcc, exec, s[6:7]
	s_cbranch_vccnz .LBB8_1049
; %bb.1048:
	s_waitcnt vmcnt(0)
	v_cvt_i32_f64_e32 v2, v[0:1]
	global_store_dword v[4:5], v2, off
.LBB8_1049:
	s_mov_b64 s[6:7], 0
.LBB8_1050:
	s_andn2_b64 vcc, exec, s[6:7]
	s_cbranch_vccnz .LBB8_1052
; %bb.1051:
	s_waitcnt vmcnt(0)
	v_cvt_i32_f64_e32 v2, v[0:1]
	global_store_short v[4:5], v2, off
.LBB8_1052:
	s_mov_b64 s[6:7], 0
.LBB8_1053:
	s_andn2_b64 vcc, exec, s[6:7]
	s_cbranch_vccnz .LBB8_1058
; %bb.1054:
	s_sext_i32_i16 s6, s26
	s_cmp_gt_i32 s6, 0
	s_mov_b64 s[6:7], -1
	s_cbranch_scc0 .LBB8_1056
; %bb.1055:
	s_waitcnt vmcnt(0)
	v_cvt_i32_f64_e32 v2, v[0:1]
	s_mov_b64 s[6:7], 0
	global_store_byte v[4:5], v2, off
.LBB8_1056:
	s_andn2_b64 vcc, exec, s[6:7]
	s_cbranch_vccnz .LBB8_1058
; %bb.1057:
	v_trunc_f64_e32 v[0:1], v[0:1]
	s_movk_i32 s6, 0xffe0
	s_waitcnt vmcnt(0)
	v_ldexp_f64 v[2:3], v[0:1], s6
	s_mov_b32 s6, 0
	s_mov_b32 s7, 0xc1f00000
	v_floor_f64_e32 v[2:3], v[2:3]
	v_fma_f64 v[0:1], v[2:3], s[6:7], v[0:1]
	v_cvt_u32_f64_e32 v0, v[0:1]
	global_store_byte v[4:5], v0, off
.LBB8_1058:
	s_or_b64 exec, exec, s[0:1]
	s_and_b64 s[6:7], s[16:17], exec
                                        ; implicit-def: $vgpr26
.LBB8_1059:
	s_or_saveexec_b64 s[4:5], s[4:5]
	s_mov_b64 s[0:1], 0
                                        ; implicit-def: $sgpr20
                                        ; implicit-def: $vgpr0_vgpr1
                                        ; implicit-def: $vgpr12_vgpr13
	s_xor_b64 exec, exec, s[4:5]
	s_cbranch_execz .LBB8_1685
; %bb.1060:
	v_mul_lo_u32 v12, s3, v26
	v_mov_b32_e32 v1, s11
	s_and_b32 s38, 0xffff, s54
	s_cmp_lt_i32 s38, 11
	s_waitcnt vmcnt(0)
	v_ashrrev_i32_e32 v2, 31, v12
	v_add_co_u32_e32 v0, vcc, s10, v12
	v_addc_co_u32_e32 v1, vcc, v1, v2, vcc
	s_cbranch_scc1 .LBB8_1067
; %bb.1061:
	s_cmp_gt_i32 s38, 25
	s_cbranch_scc0 .LBB8_1069
; %bb.1062:
	s_cmp_gt_i32 s38, 28
	s_cbranch_scc0 .LBB8_1070
	;; [unrolled: 3-line block ×4, first 2 shown]
; %bb.1065:
	s_cmp_eq_u32 s38, 46
	s_mov_b64 s[14:15], 0
	s_cbranch_scc0 .LBB8_1075
; %bb.1066:
	global_load_dword v2, v[0:1], off
	s_mov_b64 s[16:17], -1
	s_waitcnt vmcnt(0)
	v_lshlrev_b32_e32 v2, 16, v2
	v_cvt_f64_f32_e32 v[2:3], v2
	s_branch .LBB8_1076
.LBB8_1067:
	s_mov_b64 s[16:17], 0
                                        ; implicit-def: $vgpr2_vgpr3
	s_mov_b64 s[14:15], s[6:7]
	s_cbranch_execnz .LBB8_1139
.LBB8_1068:
	s_andn2_b64 vcc, exec, s[16:17]
                                        ; implicit-def: $vgpr14_vgpr15
	s_cbranch_vccz .LBB8_1184
	s_branch .LBB8_1682
.LBB8_1069:
	s_mov_b64 s[16:17], 0
                                        ; implicit-def: $vgpr2_vgpr3
	s_cbranch_execnz .LBB8_1106
	s_branch .LBB8_1135
.LBB8_1070:
	s_mov_b64 s[14:15], -1
	s_mov_b64 s[16:17], 0
                                        ; implicit-def: $vgpr2_vgpr3
	s_branch .LBB8_1085
.LBB8_1071:
	s_mov_b64 s[16:17], 0
                                        ; implicit-def: $vgpr2_vgpr3
	s_cbranch_execnz .LBB8_1081
	s_branch .LBB8_1084
.LBB8_1072:
	s_mov_b64 s[14:15], -1
	s_mov_b64 s[16:17], 0
                                        ; implicit-def: $vgpr2_vgpr3
	s_branch .LBB8_1076
.LBB8_1073:
	s_andn2_saveexec_b64 s[22:23], s[22:23]
	s_cbranch_execz .LBB8_972
.LBB8_1074:
	s_mov_b32 s24, 0x46000000
	v_add_f32_e64 v3, |v2|, s24
	v_and_b32_e32 v3, 0xff, v3
	v_cmp_ne_u32_e32 vcc, 0, v3
	s_andn2_b64 s[20:21], s[20:21], exec
	s_and_b64 s[24:25], vcc, exec
	s_or_b64 s[20:21], s[20:21], s[24:25]
	s_or_b64 exec, exec, s[22:23]
	v_mov_b32_e32 v6, 0
	s_and_saveexec_b64 s[22:23], s[20:21]
	s_cbranch_execnz .LBB8_973
	s_branch .LBB8_974
.LBB8_1075:
	s_mov_b64 s[0:1], -1
                                        ; implicit-def: $vgpr2_vgpr3
	s_mov_b64 s[16:17], 0
.LBB8_1076:
	s_and_b64 vcc, exec, s[14:15]
	s_cbranch_vccz .LBB8_1079
; %bb.1077:
	s_cmp_eq_u32 s38, 44
	s_cbranch_scc0 .LBB8_1080
; %bb.1078:
	global_load_ubyte v4, v[0:1], off
	s_movk_i32 s14, 0xff
	v_bfrev_b32_e32 v5, 4
	v_mov_b32_e32 v6, 0x7ff80000
	v_bfrev_b32_e32 v7, 28
	s_mov_b64 s[0:1], 0
	s_mov_b64 s[16:17], -1
	s_waitcnt vmcnt(0)
	v_lshlrev_b32_e32 v2, 23, v4
	v_cvt_f64_f32_e32 v[2:3], v2
	v_cmp_ne_u32_e32 vcc, s14, v4
	v_cndmask_b32_e32 v2, v5, v2, vcc
	v_cndmask_b32_e32 v3, v6, v3, vcc
	v_cmp_ne_u32_e32 vcc, 0, v4
	v_cndmask_b32_e32 v3, v7, v3, vcc
	v_cndmask_b32_e32 v2, 0, v2, vcc
.LBB8_1079:
	s_branch .LBB8_1084
.LBB8_1080:
	s_mov_b64 s[0:1], -1
                                        ; implicit-def: $vgpr2_vgpr3
	s_branch .LBB8_1084
.LBB8_1081:
	s_cmp_eq_u32 s38, 29
	s_cbranch_scc0 .LBB8_1083
; %bb.1082:
	global_load_dwordx2 v[2:3], v[0:1], off
	s_mov_b64 s[0:1], 0
	s_mov_b64 s[16:17], -1
	s_mov_b64 s[14:15], 0
	s_waitcnt vmcnt(0)
	v_cvt_f64_u32_e32 v[3:4], v3
	v_cvt_f64_u32_e32 v[5:6], v2
	v_ldexp_f64 v[3:4], v[3:4], 32
	v_add_f64 v[2:3], v[3:4], v[5:6]
	s_branch .LBB8_1085
.LBB8_1083:
	s_mov_b64 s[0:1], -1
                                        ; implicit-def: $vgpr2_vgpr3
.LBB8_1084:
	s_mov_b64 s[14:15], 0
.LBB8_1085:
	s_and_b64 vcc, exec, s[14:15]
	s_cbranch_vccz .LBB8_1105
; %bb.1086:
	s_cmp_lt_i32 s38, 27
	s_cbranch_scc1 .LBB8_1089
; %bb.1087:
	s_cmp_gt_i32 s38, 27
	s_cbranch_scc0 .LBB8_1090
; %bb.1088:
	global_load_dword v2, v[0:1], off
	s_mov_b64 s[14:15], 0
	s_waitcnt vmcnt(0)
	v_cvt_f64_u32_e32 v[2:3], v2
	s_branch .LBB8_1091
.LBB8_1089:
	s_mov_b64 s[14:15], -1
                                        ; implicit-def: $vgpr2_vgpr3
	s_branch .LBB8_1094
.LBB8_1090:
	s_mov_b64 s[14:15], -1
                                        ; implicit-def: $vgpr2_vgpr3
.LBB8_1091:
	s_andn2_b64 vcc, exec, s[14:15]
	s_cbranch_vccnz .LBB8_1093
; %bb.1092:
	global_load_ushort v2, v[0:1], off
	s_waitcnt vmcnt(0)
	v_cvt_f64_u32_e32 v[2:3], v2
.LBB8_1093:
	s_mov_b64 s[14:15], 0
.LBB8_1094:
	s_andn2_b64 vcc, exec, s[14:15]
	s_cbranch_vccnz .LBB8_1104
; %bb.1095:
	global_load_ubyte v4, v[0:1], off
	s_movk_i32 s14, 0x7f
	s_waitcnt vmcnt(0)
	v_cmp_lt_i16_e32 vcc, s14, v4
	s_mov_b64 s[14:15], 0
	s_and_saveexec_b64 s[16:17], vcc
	s_xor_b64 s[16:17], exec, s[16:17]
	s_cbranch_execz .LBB8_1099
; %bb.1096:
	s_movk_i32 s14, 0x80
	v_cmp_eq_u16_e32 vcc, s14, v4
	s_mov_b64 s[14:15], -1
	s_and_saveexec_b64 s[18:19], vcc
; %bb.1097:
	s_xor_b64 s[14:15], exec, -1
; %bb.1098:
	s_or_b64 exec, exec, s[18:19]
	s_and_b64 s[14:15], s[14:15], exec
.LBB8_1099:
	s_or_saveexec_b64 s[16:17], s[16:17]
	v_bfrev_b32_e32 v2, 4
	v_mov_b32_e32 v3, 0x7ff80000
	s_xor_b64 exec, exec, s[16:17]
; %bb.1100:
	v_cmp_ne_u16_e32 vcc, 0, v4
	v_mov_b32_e32 v2, 0
	s_andn2_b64 s[14:15], s[14:15], exec
	s_and_b64 s[18:19], vcc, exec
	v_mov_b32_e32 v3, 0
	s_or_b64 s[14:15], s[14:15], s[18:19]
; %bb.1101:
	s_or_b64 exec, exec, s[16:17]
	s_and_saveexec_b64 s[16:17], s[14:15]
	s_cbranch_execz .LBB8_1103
; %bb.1102:
	v_and_b32_e32 v3, 0xffff, v4
	v_lshlrev_b32_e32 v2, 24, v4
	v_and_b32_e32 v4, 7, v3
	v_ffbh_u32_e32 v6, v4
	v_min_u32_e32 v6, 32, v6
	v_subrev_u32_e32 v7, 28, v6
	v_bfe_u32 v5, v3, 3, 4
	v_lshlrev_b32_e32 v3, v7, v3
	v_sub_u32_e32 v6, 29, v6
	v_and_b32_e32 v3, 7, v3
	v_cmp_eq_u32_e32 vcc, 0, v5
	v_cndmask_b32_e32 v5, v5, v6, vcc
	v_cndmask_b32_e32 v3, v4, v3, vcc
	v_mov_b32_e32 v4, 0x3b800000
	v_lshlrev_b32_e32 v3, 20, v3
	v_and_b32_e32 v2, 0x80000000, v2
	v_lshl_add_u32 v4, v5, 23, v4
	v_or3_b32 v2, v2, v4, v3
	v_cvt_f64_f32_e32 v[2:3], v2
.LBB8_1103:
	s_or_b64 exec, exec, s[16:17]
.LBB8_1104:
	s_mov_b64 s[16:17], -1
.LBB8_1105:
	s_branch .LBB8_1135
.LBB8_1106:
	s_cmp_gt_i32 s38, 22
	s_cbranch_scc0 .LBB8_1118
; %bb.1107:
	s_cmp_lt_i32 s38, 24
	s_cbranch_scc1 .LBB8_1119
; %bb.1108:
	s_cmp_gt_i32 s38, 24
	s_cbranch_scc0 .LBB8_1120
; %bb.1109:
	global_load_ubyte v4, v[0:1], off
	s_movk_i32 s12, 0x7f
	s_waitcnt vmcnt(0)
	v_cmp_lt_i16_e32 vcc, s12, v4
	s_mov_b64 s[12:13], 0
	s_and_saveexec_b64 s[14:15], vcc
	s_xor_b64 s[14:15], exec, s[14:15]
	s_cbranch_execz .LBB8_1113
; %bb.1110:
	s_movk_i32 s12, 0x80
	v_cmp_eq_u16_e32 vcc, s12, v4
	s_mov_b64 s[12:13], -1
	s_and_saveexec_b64 s[16:17], vcc
; %bb.1111:
	s_xor_b64 s[12:13], exec, -1
; %bb.1112:
	s_or_b64 exec, exec, s[16:17]
	s_and_b64 s[12:13], s[12:13], exec
.LBB8_1113:
	s_or_saveexec_b64 s[14:15], s[14:15]
	v_bfrev_b32_e32 v2, 4
	v_mov_b32_e32 v3, 0x7ff80000
	s_xor_b64 exec, exec, s[14:15]
; %bb.1114:
	v_cmp_ne_u16_e32 vcc, 0, v4
	v_mov_b32_e32 v2, 0
	s_andn2_b64 s[12:13], s[12:13], exec
	s_and_b64 s[16:17], vcc, exec
	v_mov_b32_e32 v3, 0
	s_or_b64 s[12:13], s[12:13], s[16:17]
; %bb.1115:
	s_or_b64 exec, exec, s[14:15]
	s_and_saveexec_b64 s[14:15], s[12:13]
	s_cbranch_execz .LBB8_1117
; %bb.1116:
	v_and_b32_e32 v3, 0xffff, v4
	v_lshlrev_b32_e32 v2, 24, v4
	v_and_b32_e32 v4, 3, v3
	v_ffbh_u32_e32 v6, v4
	v_min_u32_e32 v6, 32, v6
	v_subrev_u32_e32 v7, 29, v6
	v_bfe_u32 v5, v3, 2, 5
	v_lshlrev_b32_e32 v3, v7, v3
	v_sub_u32_e32 v6, 30, v6
	v_and_b32_e32 v3, 3, v3
	v_cmp_eq_u32_e32 vcc, 0, v5
	v_cndmask_b32_e32 v5, v5, v6, vcc
	v_cndmask_b32_e32 v3, v4, v3, vcc
	v_mov_b32_e32 v4, 0x37800000
	v_lshlrev_b32_e32 v3, 21, v3
	v_and_b32_e32 v2, 0x80000000, v2
	v_lshl_add_u32 v4, v5, 23, v4
	v_or3_b32 v2, v2, v4, v3
	v_cvt_f64_f32_e32 v[2:3], v2
.LBB8_1117:
	s_or_b64 exec, exec, s[14:15]
	s_mov_b64 s[12:13], 0
	s_branch .LBB8_1121
.LBB8_1118:
                                        ; implicit-def: $vgpr2_vgpr3
	s_mov_b64 s[12:13], 0
	s_branch .LBB8_1127
.LBB8_1119:
	s_mov_b64 s[12:13], -1
                                        ; implicit-def: $vgpr2_vgpr3
	s_branch .LBB8_1124
.LBB8_1120:
	s_mov_b64 s[12:13], -1
                                        ; implicit-def: $vgpr2_vgpr3
.LBB8_1121:
	s_and_b64 vcc, exec, s[12:13]
	s_cbranch_vccz .LBB8_1123
; %bb.1122:
	global_load_ubyte v2, v[0:1], off
	s_mov_b32 s12, 0x7f800000
	s_waitcnt vmcnt(0)
	v_lshlrev_b32_e32 v2, 24, v2
	v_and_b32_e32 v3, 0x7f000000, v2
	v_ffbh_u32_e32 v4, v3
	v_min_u32_e32 v4, 32, v4
	v_sub_u32_e64 v4, v4, 4 clamp
	v_lshlrev_b32_e32 v6, v4, v3
	v_lshlrev_b32_e32 v4, 23, v4
	v_lshrrev_b32_e32 v6, 4, v6
	v_add_u32_e32 v5, 0x1000000, v3
	v_sub_u32_e32 v4, v6, v4
	v_ashrrev_i32_e32 v5, 8, v5
	v_add_u32_e32 v4, 0x3c000000, v4
	v_and_or_b32 v4, v5, s12, v4
	v_cmp_ne_u32_e32 vcc, 0, v3
	v_cndmask_b32_e32 v3, 0, v4, vcc
	s_brev_b32 s12, 1
	v_and_or_b32 v2, v2, s12, v3
	v_cvt_f64_f32_e32 v[2:3], v2
.LBB8_1123:
	s_mov_b64 s[12:13], 0
.LBB8_1124:
	s_andn2_b64 vcc, exec, s[12:13]
	s_cbranch_vccnz .LBB8_1126
; %bb.1125:
	global_load_ubyte v2, v[0:1], off
	s_movk_i32 s12, 0x7f00
	s_brev_b32 s13, 16
	s_waitcnt vmcnt(0)
	v_lshlrev_b16_e32 v3, 8, v2
	v_lshlrev_b32_e32 v2, 25, v2
	v_lshrrev_b32_e32 v4, 4, v2
	v_and_or_b32 v5, v3, s12, 0.5
	v_or_b32_e32 v4, 0x70000000, v4
	v_add_f32_e32 v5, -0.5, v5
	v_mul_f32_e32 v4, 0x7800000, v4
	v_cmp_gt_u32_e32 vcc, s13, v2
	v_bfe_i32 v3, v3, 0, 16
	v_cndmask_b32_e32 v2, v4, v5, vcc
	s_brev_b32 s12, 1
	v_and_or_b32 v2, v3, s12, v2
	v_cvt_f64_f32_e32 v[2:3], v2
.LBB8_1126:
	s_mov_b64 s[16:17], -1
	s_mov_b64 s[12:13], 0
	s_cbranch_execnz .LBB8_1135
.LBB8_1127:
	s_cmp_gt_i32 s38, 14
	s_cbranch_scc0 .LBB8_1130
; %bb.1128:
	s_cmp_eq_u32 s38, 15
	s_cbranch_scc0 .LBB8_1131
; %bb.1129:
	global_load_ushort v2, v[0:1], off
	s_mov_b64 s[0:1], 0
	s_mov_b64 s[16:17], -1
	s_waitcnt vmcnt(0)
	v_lshlrev_b32_e32 v2, 16, v2
	v_cvt_f64_f32_e32 v[2:3], v2
	s_branch .LBB8_1132
.LBB8_1130:
	s_mov_b64 s[14:15], -1
                                        ; implicit-def: $vgpr2_vgpr3
	s_branch .LBB8_1133
.LBB8_1131:
	s_mov_b64 s[0:1], -1
                                        ; implicit-def: $vgpr2_vgpr3
.LBB8_1132:
	s_mov_b64 s[14:15], 0
.LBB8_1133:
	s_and_b64 vcc, exec, s[14:15]
	s_cbranch_vccz .LBB8_1135
; %bb.1134:
	s_cmp_lg_u32 s38, 11
	s_mov_b64 s[12:13], -1
	s_cselect_b64 s[0:1], -1, 0
.LBB8_1135:
	s_and_b64 vcc, exec, s[0:1]
	s_mov_b64 s[14:15], s[6:7]
	s_cbranch_vccnz .LBB8_1204
; %bb.1136:
	s_andn2_b64 vcc, exec, s[12:13]
	s_cbranch_vccnz .LBB8_1138
.LBB8_1137:
	global_load_ubyte v3, v[0:1], off
	v_mov_b32_e32 v4, 0x3ff00000
	v_mov_b32_e32 v2, 0
	s_mov_b64 s[16:17], -1
	s_waitcnt vmcnt(0)
	v_cmp_ne_u16_e32 vcc, 0, v3
	v_cndmask_b32_e32 v3, 0, v4, vcc
.LBB8_1138:
	s_branch .LBB8_1068
.LBB8_1139:
	s_cmp_lt_i32 s38, 5
	s_cbranch_scc1 .LBB8_1144
; %bb.1140:
	s_cmp_lt_i32 s38, 8
	s_cbranch_scc1 .LBB8_1145
; %bb.1141:
	;; [unrolled: 3-line block ×3, first 2 shown]
	s_cmp_gt_i32 s38, 9
	s_cbranch_scc0 .LBB8_1147
; %bb.1143:
	global_load_dwordx2 v[2:3], v[0:1], off
	s_mov_b64 s[0:1], 0
	s_branch .LBB8_1148
.LBB8_1144:
                                        ; implicit-def: $vgpr2_vgpr3
	s_branch .LBB8_1165
.LBB8_1145:
                                        ; implicit-def: $vgpr2_vgpr3
	s_branch .LBB8_1154
.LBB8_1146:
	s_mov_b64 s[0:1], -1
                                        ; implicit-def: $vgpr2_vgpr3
	s_branch .LBB8_1151
.LBB8_1147:
	s_mov_b64 s[0:1], -1
                                        ; implicit-def: $vgpr2_vgpr3
.LBB8_1148:
	s_andn2_b64 vcc, exec, s[0:1]
	s_cbranch_vccnz .LBB8_1150
; %bb.1149:
	global_load_dword v2, v[0:1], off
	s_waitcnt vmcnt(0)
	v_cvt_f64_f32_e32 v[2:3], v2
.LBB8_1150:
	s_mov_b64 s[0:1], 0
.LBB8_1151:
	s_andn2_b64 vcc, exec, s[0:1]
	s_cbranch_vccnz .LBB8_1153
; %bb.1152:
	global_load_dword v2, v[0:1], off
	s_waitcnt vmcnt(0)
	v_cvt_f32_f16_e32 v2, v2
	v_cvt_f64_f32_e32 v[2:3], v2
.LBB8_1153:
	s_cbranch_execnz .LBB8_1164
.LBB8_1154:
	s_cmp_lt_i32 s38, 6
	s_cbranch_scc1 .LBB8_1157
; %bb.1155:
	s_cmp_gt_i32 s38, 6
	s_cbranch_scc0 .LBB8_1158
; %bb.1156:
	global_load_dwordx2 v[2:3], v[0:1], off
	s_mov_b64 s[0:1], 0
	s_branch .LBB8_1159
.LBB8_1157:
	s_mov_b64 s[0:1], -1
                                        ; implicit-def: $vgpr2_vgpr3
	s_branch .LBB8_1162
.LBB8_1158:
	s_mov_b64 s[0:1], -1
                                        ; implicit-def: $vgpr2_vgpr3
.LBB8_1159:
	s_andn2_b64 vcc, exec, s[0:1]
	s_cbranch_vccnz .LBB8_1161
; %bb.1160:
	global_load_dword v2, v[0:1], off
	s_waitcnt vmcnt(0)
	v_cvt_f64_f32_e32 v[2:3], v2
.LBB8_1161:
	s_mov_b64 s[0:1], 0
.LBB8_1162:
	s_andn2_b64 vcc, exec, s[0:1]
	s_cbranch_vccnz .LBB8_1164
; %bb.1163:
	global_load_ushort v2, v[0:1], off
	s_waitcnt vmcnt(0)
	v_cvt_f32_f16_e32 v2, v2
	v_cvt_f64_f32_e32 v[2:3], v2
.LBB8_1164:
	s_cbranch_execnz .LBB8_1183
.LBB8_1165:
	s_cmp_lt_i32 s38, 2
	s_cbranch_scc1 .LBB8_1169
; %bb.1166:
	s_cmp_lt_i32 s38, 3
	s_cbranch_scc1 .LBB8_1170
; %bb.1167:
	s_cmp_gt_i32 s38, 3
	s_cbranch_scc0 .LBB8_1171
; %bb.1168:
	global_load_dwordx2 v[2:3], v[0:1], off
	s_mov_b64 s[0:1], 0
	s_waitcnt vmcnt(0)
	v_cvt_f64_i32_e32 v[3:4], v3
	v_cvt_f64_u32_e32 v[5:6], v2
	v_ldexp_f64 v[3:4], v[3:4], 32
	v_add_f64 v[2:3], v[3:4], v[5:6]
	s_branch .LBB8_1172
.LBB8_1169:
                                        ; implicit-def: $vgpr2_vgpr3
	s_branch .LBB8_1178
.LBB8_1170:
	s_mov_b64 s[0:1], -1
                                        ; implicit-def: $vgpr2_vgpr3
	s_branch .LBB8_1175
.LBB8_1171:
	s_mov_b64 s[0:1], -1
                                        ; implicit-def: $vgpr2_vgpr3
.LBB8_1172:
	s_andn2_b64 vcc, exec, s[0:1]
	s_cbranch_vccnz .LBB8_1174
; %bb.1173:
	global_load_dword v2, v[0:1], off
	s_waitcnt vmcnt(0)
	v_cvt_f64_i32_e32 v[2:3], v2
.LBB8_1174:
	s_mov_b64 s[0:1], 0
.LBB8_1175:
	s_andn2_b64 vcc, exec, s[0:1]
	s_cbranch_vccnz .LBB8_1177
; %bb.1176:
	global_load_sshort v2, v[0:1], off
	s_waitcnt vmcnt(0)
	v_cvt_f64_i32_e32 v[2:3], v2
.LBB8_1177:
	s_cbranch_execnz .LBB8_1183
.LBB8_1178:
	s_cmp_gt_i32 s38, 0
	s_cbranch_scc0 .LBB8_1180
; %bb.1179:
	global_load_sbyte v2, v[0:1], off
	s_mov_b64 s[0:1], 0
	s_waitcnt vmcnt(0)
	v_cvt_f64_i32_e32 v[2:3], v2
	s_branch .LBB8_1181
.LBB8_1180:
	s_mov_b64 s[0:1], -1
                                        ; implicit-def: $vgpr2_vgpr3
.LBB8_1181:
	s_andn2_b64 vcc, exec, s[0:1]
	s_cbranch_vccnz .LBB8_1183
; %bb.1182:
	global_load_ubyte v0, v[0:1], off
	s_waitcnt vmcnt(0)
	v_cvt_f64_u32_e32 v[2:3], v0
.LBB8_1183:
                                        ; implicit-def: $vgpr14_vgpr15
.LBB8_1184:
	s_waitcnt vmcnt(0)
	v_cmp_neq_f64_e32 vcc, 0, v[2:3]
	v_mov_b32_e32 v0, 0
	v_mov_b32_e32 v1, 0x7ff00000
	s_and_saveexec_b64 s[12:13], vcc
	s_cbranch_execz .LBB8_1192
; %bb.1185:
	v_cmp_ngt_f64_e32 vcc, 0, v[2:3]
	v_mov_b32_e32 v0, 0
	v_mov_b32_e32 v1, 0x7ff80000
	s_and_saveexec_b64 s[16:17], vcc
	s_cbranch_execz .LBB8_1191
; %bb.1186:
	v_cmp_ge_f64_e32 vcc, 2.0, v[2:3]
                                        ; implicit-def: $vgpr0_vgpr1
	s_and_saveexec_b64 s[0:1], vcc
	s_xor_b64 s[18:19], exec, s[0:1]
	s_cbranch_execz .LBB8_1188
; %bb.1187:
	v_fma_f64 v[0:1], v[2:3], 0.5, -2.0
	v_mov_b32_e32 v4, 0x977da589
	v_mov_b32_e32 v5, 0x3c833362
	s_mov_b32 s1, 0xbc545cb7
	s_mov_b32 s0, 0x2134d0ef
	s_mov_b32 s21, 0x3fe55555
	s_mov_b32 s20, 0x55555555
	s_mov_b32 s22, 0x59c41d5a
	v_fma_f64 v[4:5], v[0:1], s[0:1], v[4:5]
	s_mov_b32 s1, 0x3c545cb7
	s_mov_b32 s23, 0xbf0e2b26
	;; [unrolled: 1-line block ×7, first 2 shown]
	v_fma_f64 v[6:7], v[0:1], v[4:5], s[0:1]
	s_mov_b32 s0, 0x721ebbb4
	s_mov_b32 s1, 0xbcb184eb
	;; [unrolled: 1-line block ×7, first 2 shown]
	v_add_f64 v[6:7], v[6:7], s[0:1]
	s_mov_b32 s0, 0x93f65eba
	s_mov_b32 s1, 0x3cdee6d8
	v_mul_f64 v[33:34], v[2:3], s[44:45]
	s_mov_b32 s31, 0x3fe62e42
	s_mov_b32 s30, 0xfefa39ef
	;; [unrolled: 1-line block ×4, first 2 shown]
	v_fma_f64 v[4:5], v[0:1], v[6:7], -v[4:5]
	s_mov_b32 s27, 0x3c7abc9e
	s_mov_b32 s26, 0x3b39803f
	;; [unrolled: 1-line block ×4, first 2 shown]
	v_add_f64 v[4:5], v[4:5], s[0:1]
	s_mov_b32 s0, 0xc297fbeb
	s_mov_b32 s1, 0xbd0a5022
	v_fma_f64 v[6:7], v[0:1], v[4:5], -v[6:7]
	v_add_f64 v[6:7], v[6:7], s[0:1]
	s_mov_b32 s0, 0x4b262627
	s_mov_b32 s1, 0x3d359b46
	v_fma_f64 v[4:5], v[0:1], v[6:7], -v[4:5]
	;; [unrolled: 4-line block ×4, first 2 shown]
	v_add_f64 v[8:9], v[4:5], s[0:1]
	v_mul_f64 v[4:5], v[2:3], 0.5
	s_mov_b32 s0, 0x7a946abc
	s_mov_b32 s1, 0xbdb2fc95
	v_fma_f64 v[6:7], v[0:1], v[8:9], -v[6:7]
	v_frexp_mant_f64_e32 v[10:11], v[4:5]
	v_frexp_exp_i32_f64_e32 v25, v[4:5]
	v_add_f64 v[6:7], v[6:7], s[0:1]
	v_cmp_gt_f64_e32 vcc, s[20:21], v[10:11]
	s_mov_b32 s0, 0xcc743c10
	s_mov_b32 s1, 0x3dda98be
	;; [unrolled: 1-line block ×3, first 2 shown]
	v_fma_f64 v[8:9], v[0:1], v[6:7], -v[8:9]
	v_cndmask_b32_e64 v13, 0, 1, vcc
	v_ldexp_f64 v[10:11], v[10:11], v13
	v_subbrev_co_u32_e32 v25, vcc, 0, v25, vcc
	v_add_f64 v[8:9], v[8:9], s[0:1]
	s_mov_b32 s0, 0x13ae9556
	v_add_f64 v[13:14], v[10:11], 1.0
	s_mov_b32 s1, 0xbe01d4fe
	v_add_f64 v[19:20], v[10:11], -1.0
	v_fma_f64 v[6:7], v[0:1], v[8:9], -v[6:7]
	v_rcp_f64_e32 v[15:16], v[13:14]
	v_add_f64 v[21:22], v[13:14], -1.0
	v_add_f64 v[6:7], v[6:7], s[0:1]
	s_mov_b32 s0, 0xa454cb34
	s_mov_b32 s1, 0x3e26d903
	v_add_f64 v[10:11], v[10:11], -v[21:22]
	v_fma_f64 v[8:9], v[0:1], v[6:7], -v[8:9]
	v_fma_f64 v[17:18], -v[13:14], v[15:16], 1.0
	v_fma_f64 v[15:16], v[17:18], v[15:16], v[15:16]
	v_add_f64 v[17:18], v[8:9], s[0:1]
	s_mov_b32 s0, 0x8c0b30ab
	s_mov_b32 s1, 0xbe4beaf6
	v_fma_f64 v[8:9], -v[13:14], v[15:16], 1.0
	v_fma_f64 v[6:7], v[0:1], v[17:18], -v[6:7]
	v_fma_f64 v[15:16], v[8:9], v[15:16], v[15:16]
	v_add_f64 v[6:7], v[6:7], s[0:1]
	s_mov_b32 s0, 0x9d4d6435
	s_mov_b32 s1, 0x3e703b76
	v_mul_f64 v[8:9], v[19:20], v[15:16]
	v_fma_f64 v[17:18], v[0:1], v[6:7], -v[17:18]
	v_mul_f64 v[23:24], v[13:14], v[8:9]
	v_add_f64 v[17:18], v[17:18], s[0:1]
	s_mov_b32 s0, 0x8f227f8d
	s_mov_b32 s1, 0xbe91ec63
	v_fma_f64 v[13:14], v[8:9], v[13:14], -v[23:24]
	v_fma_f64 v[6:7], v[0:1], v[17:18], -v[6:7]
	v_fma_f64 v[10:11], v[8:9], v[10:11], v[13:14]
	v_add_f64 v[6:7], v[6:7], s[0:1]
	s_mov_b32 s0, 0x978cf4ac
	s_mov_b32 s1, 0x3eb2bf24
	v_add_f64 v[13:14], v[23:24], v[10:11]
	v_fma_f64 v[17:18], v[0:1], v[6:7], -v[17:18]
	v_add_f64 v[21:22], v[19:20], -v[13:14]
	v_add_f64 v[17:18], v[17:18], s[0:1]
	v_add_f64 v[23:24], v[13:14], -v[23:24]
	s_mov_b32 s0, 0xcba56427
	s_mov_b32 s1, 0xbed2866f
	v_add_f64 v[19:20], v[19:20], -v[21:22]
	v_fma_f64 v[6:7], v[0:1], v[17:18], -v[6:7]
	v_add_f64 v[10:11], v[23:24], -v[10:11]
	v_mov_b32_e32 v23, 0xc384c2aa
	v_mov_b32_e32 v24, 0x3d27fb0a
	v_add_f64 v[13:14], v[19:20], -v[13:14]
	v_add_f64 v[6:7], v[6:7], s[0:1]
	s_mov_b32 s0, 0xbe9a2859
	s_mov_b32 s1, 0x3ef13f58
	v_add_f64 v[10:11], v[10:11], v[13:14]
	v_fma_f64 v[13:14], v[0:1], v[6:7], -v[17:18]
	v_add_f64 v[10:11], v[21:22], v[10:11]
	v_add_f64 v[13:14], v[13:14], s[0:1]
	s_mov_b32 s0, 0xbf559e2b
	s_mov_b32 s1, 0x3fc3ab76
	v_mul_f64 v[10:11], v[15:16], v[10:11]
	v_fma_f64 v[6:7], v[0:1], v[13:14], -v[6:7]
	v_mov_b32_e32 v15, 0x6b47b09a
	v_mov_b32_e32 v16, 0x3fc38538
	v_add_f64 v[17:18], v[8:9], v[10:11]
	v_add_f64 v[19:20], v[6:7], s[22:23]
	s_mov_b32 s22, 0xd7f4df2e
	s_mov_b32 s23, 0x3fc7474d
	v_mul_f64 v[21:22], v[17:18], v[17:18]
	v_fma_f64 v[6:7], v[0:1], v[19:20], -v[13:14]
	v_add_f64 v[8:9], v[17:18], -v[8:9]
	v_fma_f64 v[13:14], v[21:22], s[0:1], v[15:16]
	s_mov_b32 s0, 0x74107cab
	s_mov_b32 s1, 0x3f28b51b
	v_add_f64 v[15:16], v[6:7], s[0:1]
	s_mov_b32 s0, 0x1f15eb52
	s_mov_b32 s1, 0xbf42e2fd
	v_fma_f64 v[6:7], v[2:3], v[2:3], -2.0
	v_mul_f64 v[27:28], v[17:18], v[21:22]
	v_fma_f64 v[13:14], v[21:22], v[13:14], s[22:23]
	v_add_f64 v[10:11], v[10:11], -v[8:9]
	v_rndne_f64_e32 v[8:9], v[33:34]
	v_fma_f64 v[19:20], v[0:1], v[15:16], -v[19:20]
	s_mov_b32 s22, 0x75633d73
	s_mov_b32 s23, 0x3f54b82e
	v_fma_f64 v[13:14], v[21:22], v[13:14], s[24:25]
	v_ldexp_f64 v[10:11], v[10:11], 1
	s_mov_b32 s24, 0xfe8cfca0
	v_add_f64 v[19:20], v[19:20], s[0:1]
	s_mov_b32 s25, 0x3ef7f900
	s_mov_b32 s0, 0x554a9085
	;; [unrolled: 1-line block ×3, first 2 shown]
	v_fma_f64 v[13:14], v[21:22], v[13:14], s[28:29]
	s_mov_b32 s28, 0xe7f95efc
	s_mov_b32 s29, 0x3e9102bc
	v_fma_f64 v[15:16], v[0:1], v[19:20], -v[15:16]
	v_fma_f64 v[13:14], v[21:22], v[13:14], s[36:37]
	s_mov_b32 s36, 0x8a12100e
	s_mov_b32 s37, 0x3f5adc75
	v_add_f64 v[15:16], v[15:16], s[36:37]
	s_mov_b32 s36, 0xf3dde3dd
	s_mov_b32 s37, 0x3f859961
	v_fma_f64 v[13:14], v[21:22], v[13:14], s[20:21]
	s_mov_b32 s20, 0x201aa849
	s_mov_b32 s21, 0xbf71b65e
	v_fma_f64 v[19:20], v[0:1], v[15:16], -v[19:20]
	v_fma_f64 v[21:22], v[6:7], s[40:41], v[23:24]
	v_ldexp_f64 v[23:24], v[17:18], 1
	s_mov_b32 s41, 0xbca3cee1
	v_mul_f64 v[13:14], v[27:28], v[13:14]
	v_cvt_f64_i32_e32 v[27:28], v25
	v_add_f64 v[17:18], v[19:20], s[20:21]
	v_fma_f64 v[31:32], v[6:7], v[21:22], s[40:41]
	v_mul_f64 v[19:20], v[27:28], s[30:31]
	s_mov_b32 s20, 0xf121b6f0
	s_mov_b32 s21, 0xbf984e9e
	v_add_f64 v[29:30], v[23:24], v[13:14]
	v_fma_f64 v[15:16], v[0:1], v[17:18], -v[15:16]
	v_add_f64 v[31:32], v[31:32], s[42:43]
	v_fma_f64 v[35:36], v[27:28], s[30:31], -v[19:20]
	s_mov_b32 s31, 0xbfe62e42
	v_fma_f64 v[2:3], v[8:9], s[30:31], v[2:3]
	v_add_f64 v[23:24], v[29:30], -v[23:24]
	v_add_f64 v[15:16], v[15:16], s[36:37]
	v_fma_f64 v[21:22], v[6:7], v[31:32], -v[21:22]
	v_fma_f64 v[27:28], v[27:28], s[26:27], v[35:36]
	s_mov_b32 s27, 0xbc7abc9e
	v_fma_f64 v[2:3], v[8:9], s[26:27], v[2:3]
	v_add_f64 v[13:14], v[13:14], -v[23:24]
	s_mov_b32 s36, 0xcea8a32d
	s_mov_b32 s37, 0x3fa93e8a
	v_fma_f64 v[17:18], v[0:1], v[15:16], -v[17:18]
	v_add_f64 v[21:22], v[21:22], s[34:35]
	v_add_f64 v[23:24], v[19:20], v[27:28]
	s_mov_b32 s26, 0x7c89e6b0
	s_mov_b32 s27, 0x3efa0199
	v_add_f64 v[10:11], v[10:11], v[13:14]
	v_mov_b32_e32 v13, 0xfca7ab0c
	v_mov_b32_e32 v14, 0x3e928af3
	v_add_f64 v[17:18], v[17:18], s[20:21]
	s_mov_b32 s20, 0x6a5dcb37
	s_mov_b32 s21, 0x3e5ade15
	v_fma_f64 v[13:14], v[2:3], s[20:21], v[13:14]
	v_add_f64 v[19:20], v[23:24], -v[19:20]
	v_add_f64 v[33:34], v[29:30], v[10:11]
	v_fma_f64 v[31:32], v[6:7], v[21:22], -v[31:32]
	s_mov_b32 s20, 0x623fde64
	v_fma_f64 v[15:16], v[0:1], v[17:18], -v[15:16]
	s_mov_b32 s21, 0x3ec71dee
	v_fma_f64 v[13:14], v[2:3], v[13:14], s[20:21]
	v_add_f64 v[19:20], v[27:28], -v[19:20]
	v_add_f64 v[27:28], v[33:34], -v[29:30]
	v_add_f64 v[29:30], v[23:24], v[33:34]
	v_add_f64 v[31:32], v[31:32], s[28:29]
	v_add_f64 v[15:16], v[15:16], s[36:37]
	s_mov_b32 s20, 0x342d06ea
	s_mov_b32 s21, 0xbfb84b70
	v_fma_f64 v[13:14], v[2:3], v[13:14], s[26:27]
	s_mov_b32 s26, 0x14761f6e
	v_add_f64 v[10:11], v[10:11], -v[27:28]
	v_add_f64 v[27:28], v[29:30], -v[23:24]
	v_fma_f64 v[21:22], v[6:7], v[31:32], -v[21:22]
	v_fma_f64 v[17:18], v[0:1], v[15:16], -v[17:18]
	s_mov_b32 s27, 0x3f2a01a0
	v_fma_f64 v[13:14], v[2:3], v[13:14], s[26:27]
	s_mov_b32 s26, 0x11122322
	s_mov_b32 s27, 0x3f811111
	v_add_f64 v[33:34], v[33:34], -v[27:28]
	v_add_f64 v[27:28], v[29:30], -v[27:28]
	v_add_f64 v[17:18], v[17:18], s[20:21]
	v_add_f64 v[21:22], v[21:22], s[24:25]
	s_mov_b32 s24, 0x1852b7b0
	s_mov_b32 s25, 0x3f56c16c
	v_fma_f64 v[13:14], v[2:3], v[13:14], s[24:25]
	s_mov_b32 s20, 0x77ac88c0
	s_mov_b32 s21, 0x3fc5f7ac
	v_add_f64 v[23:24], v[23:24], -v[27:28]
	v_fma_f64 v[15:16], v[0:1], v[17:18], -v[15:16]
	v_fma_f64 v[27:28], v[6:7], v[21:22], -v[31:32]
	v_add_f64 v[31:32], v[19:20], v[10:11]
	s_mov_b32 s24, 0xc057cd8d
	v_fma_f64 v[13:14], v[2:3], v[13:14], s[26:27]
	s_mov_b32 s25, 0xbfd37feb
	v_add_f64 v[23:24], v[33:34], v[23:24]
	v_add_f64 v[15:16], v[15:16], s[20:21]
	;; [unrolled: 1-line block ×3, first 2 shown]
	s_mov_b32 s20, 0x555502a1
	s_mov_b32 s21, 0x3fa55555
	v_fma_f64 v[13:14], v[2:3], v[13:14], s[20:21]
	v_add_f64 v[33:34], v[31:32], -v[19:20]
	s_mov_b32 s20, 0x55555511
	v_add_f64 v[23:24], v[31:32], v[23:24]
	v_fma_f64 v[17:18], v[0:1], v[15:16], -v[17:18]
	v_fma_f64 v[21:22], v[6:7], v[27:28], -v[21:22]
	s_mov_b32 s21, 0x3fc55555
	v_fma_f64 v[13:14], v[2:3], v[13:14], s[20:21]
	v_add_f64 v[31:32], v[31:32], -v[33:34]
	v_add_f64 v[10:11], v[10:11], -v[33:34]
	v_add_f64 v[33:34], v[29:30], v[23:24]
	v_add_f64 v[17:18], v[17:18], s[24:25]
	v_add_f64 v[21:22], v[21:22], s[0:1]
	s_mov_b32 s20, 11
	s_mov_b32 s21, 0x3fe00000
	v_fma_f64 v[13:14], v[2:3], v[13:14], s[20:21]
	v_add_f64 v[19:20], v[19:20], -v[31:32]
	s_mov_b32 s20, 0x9035a22a
	v_add_f64 v[29:30], v[33:34], -v[29:30]
	v_fma_f64 v[0:1], v[0:1], v[17:18], -v[15:16]
	v_fma_f64 v[27:28], v[6:7], v[21:22], -v[27:28]
	s_mov_b32 s21, 0x3fe5a84e
	s_mov_b32 s0, 0x81213db9
	v_fma_f64 v[13:14], v[2:3], v[13:14], 1.0
	s_mov_b32 s1, 0x3fd608d8
	v_add_f64 v[10:11], v[10:11], v[19:20]
	v_add_f64 v[17:18], v[23:24], -v[29:30]
	v_add_f64 v[0:1], v[0:1], s[20:21]
	v_add_f64 v[19:20], v[27:28], s[0:1]
	s_mov_b32 s0, 0xe9d2f61f
	s_mov_b32 s1, 0xbfe12166
	v_fma_f64 v[2:3], v[2:3], v[13:14], 1.0
	v_cvt_i32_f64_e32 v13, v[8:9]
	v_add_f64 v[10:11], v[10:11], v[17:18]
	v_add_f64 v[0:1], v[0:1], -v[15:16]
	v_fma_f64 v[6:7], v[6:7], v[19:20], -v[21:22]
	v_ldexp_f64 v[2:3], v[2:3], v13
	v_add_f64 v[8:9], v[33:34], v[10:11]
	v_mul_f64 v[0:1], v[0:1], 0.5
	v_add_f64 v[6:7], v[6:7], s[0:1]
	s_mov_b32 s0, 0
	s_mov_b32 s1, 0x7ff00000
	v_cmp_neq_f64_e32 vcc, s[0:1], v[4:5]
	v_cmp_neq_f64_e64 s[0:1], 0, v[4:5]
	v_mov_b32_e32 v10, 0x7ff00000
	v_mul_f64 v[0:1], v[2:3], v[0:1]
	v_add_f64 v[4:5], v[6:7], -v[21:22]
	v_cndmask_b32_e32 v9, v10, v9, vcc
	v_mov_b32_e32 v10, 0xfff00000
	s_and_b64 vcc, s[0:1], vcc
	v_cndmask_b32_e64 v7, v10, v9, s[0:1]
	v_cndmask_b32_e32 v6, 0, v8, vcc
	v_mul_f64 v[0:1], v[6:7], v[0:1]
	v_fma_f64 v[0:1], v[4:5], 0.5, -v[0:1]
	v_mul_f64 v[0:1], v[2:3], v[0:1]
                                        ; implicit-def: $vgpr2_vgpr3
.LBB8_1188:
	s_andn2_saveexec_b64 s[0:1], s[18:19]
	s_cbranch_execz .LBB8_1190
; %bb.1189:
	s_mov_b32 s18, 0
	s_mov_b32 s19, 0x40200000
	v_div_scale_f64 v[0:1], s[20:21], v[2:3], v[2:3], s[18:19]
	v_rcp_f64_e32 v[4:5], v[0:1]
	v_fma_f64 v[6:7], -v[0:1], v[4:5], 1.0
	v_fma_f64 v[4:5], v[4:5], v[6:7], v[4:5]
	v_div_scale_f64 v[6:7], vcc, s[18:19], v[2:3], s[18:19]
	v_fma_f64 v[8:9], -v[0:1], v[4:5], 1.0
	v_fma_f64 v[4:5], v[4:5], v[8:9], v[4:5]
	v_mul_f64 v[8:9], v[6:7], v[4:5]
	v_fma_f64 v[0:1], -v[0:1], v[8:9], v[6:7]
	v_div_fmas_f64 v[0:1], v[0:1], v[4:5], v[8:9]
	v_mov_b32_e32 v4, 0x93812603
	v_mov_b32_e32 v5, 0xbc72fecc
	;; [unrolled: 1-line block ×3, first 2 shown]
	v_div_fixup_f64 v[0:1], v[0:1], v[2:3], s[18:19]
	s_mov_b32 s19, 0x3c5871a5
	s_mov_b32 s18, 0xcf8c9ee1
	v_add_f64 v[0:1], v[0:1], -2.0
	v_fma_f64 v[4:5], v[0:1], s[18:19], v[4:5]
	s_mov_b32 s19, 0xbc5871a5
	v_fma_f64 v[6:7], v[0:1], v[4:5], s[18:19]
	s_mov_b32 s18, 0x41a8cdf4
	s_mov_b32 s19, 0x3c8e092e
	v_add_f64 v[6:7], v[6:7], s[18:19]
	s_mov_b32 s18, 0x74d77641
	s_mov_b32 s19, 0xbca82f94
	v_fma_f64 v[4:5], v[0:1], v[6:7], -v[4:5]
	v_add_f64 v[4:5], v[4:5], s[18:19]
	s_mov_b32 s18, 0x6b94785b
	s_mov_b32 s19, 0x3cc3dbf9
	v_fma_f64 v[6:7], v[0:1], v[4:5], -v[6:7]
	;; [unrolled: 4-line block ×17, first 2 shown]
	v_add_f64 v[4:5], v[4:5], s[18:19]
	s_mov_b32 s18, 0
	s_brev_b32 s19, 8
	v_cmp_gt_f64_e32 vcc, s[18:19], v[2:3]
	s_mov_b32 s18, 0xcc7470a9
	s_mov_b32 s19, 0x3eed413f
	v_fma_f64 v[6:7], v[0:1], v[4:5], -v[6:7]
	v_cndmask_b32_e32 v8, 0, v8, vcc
	v_ldexp_f64 v[2:3], v[2:3], v8
	v_add_f64 v[6:7], v[6:7], s[18:19]
	s_mov_b32 s18, 0xe7889f42
	s_mov_b32 s19, 0xbf20d797
	v_rsq_f64_e32 v[8:9], v[2:3]
	v_fma_f64 v[4:5], v[0:1], v[6:7], -v[4:5]
	v_add_f64 v[4:5], v[4:5], s[18:19]
	s_mov_b32 s18, 0xfca79342
	s_mov_b32 s19, 0x3f59b891
	v_mul_f64 v[10:11], v[2:3], v[8:9]
	v_mul_f64 v[8:9], v[8:9], 0.5
	v_fma_f64 v[6:7], v[0:1], v[4:5], -v[6:7]
	v_fma_f64 v[13:14], -v[8:9], v[10:11], 0.5
	v_add_f64 v[6:7], v[6:7], s[18:19]
	s_mov_b32 s18, 0x2d4ff71e
	s_mov_b32 s19, 0xbfa019f7
	v_fma_f64 v[10:11], v[10:11], v[13:14], v[10:11]
	v_fma_f64 v[8:9], v[8:9], v[13:14], v[8:9]
	v_fma_f64 v[4:5], v[0:1], v[6:7], -v[4:5]
	v_fma_f64 v[13:14], -v[10:11], v[10:11], v[2:3]
	v_add_f64 v[4:5], v[4:5], s[18:19]
	s_mov_b32 s18, 0x9f4e6907
	s_mov_b32 s19, 0x400385bd
	v_fma_f64 v[10:11], v[13:14], v[8:9], v[10:11]
	v_fma_f64 v[0:1], v[0:1], v[4:5], -v[6:7]
	v_fma_f64 v[4:5], -v[10:11], v[10:11], v[2:3]
	v_add_f64 v[0:1], v[0:1], s[18:19]
	v_fma_f64 v[4:5], v[4:5], v[8:9], v[10:11]
	v_add_f64 v[0:1], v[0:1], -v[6:7]
	v_mov_b32_e32 v6, 0xffffff80
	v_mov_b32_e32 v7, 0x260
	v_cndmask_b32_e32 v6, 0, v6, vcc
	v_cmp_class_f64_e32 vcc, v[2:3], v7
	v_ldexp_f64 v[4:5], v[4:5], v6
	v_mul_f64 v[0:1], v[0:1], 0.5
	v_cndmask_b32_e32 v3, v5, v3, vcc
	v_cndmask_b32_e32 v2, v4, v2, vcc
	v_div_scale_f64 v[4:5], s[18:19], v[2:3], v[2:3], v[0:1]
	v_div_scale_f64 v[10:11], vcc, v[0:1], v[2:3], v[0:1]
	v_rcp_f64_e32 v[6:7], v[4:5]
	v_fma_f64 v[8:9], -v[4:5], v[6:7], 1.0
	v_fma_f64 v[6:7], v[6:7], v[8:9], v[6:7]
	v_fma_f64 v[8:9], -v[4:5], v[6:7], 1.0
	v_fma_f64 v[6:7], v[6:7], v[8:9], v[6:7]
	v_mul_f64 v[8:9], v[10:11], v[6:7]
	v_fma_f64 v[4:5], -v[4:5], v[8:9], v[10:11]
	v_div_fmas_f64 v[4:5], v[4:5], v[6:7], v[8:9]
	v_div_fixup_f64 v[0:1], v[4:5], v[2:3], v[0:1]
.LBB8_1190:
	s_or_b64 exec, exec, s[0:1]
.LBB8_1191:
	s_or_b64 exec, exec, s[16:17]
.LBB8_1192:
	s_or_b64 exec, exec, s[12:13]
	s_lshl_b32 s3, s3, 7
	v_add_u32_e32 v14, s3, v12
	v_ashrrev_i32_e32 v2, 31, v14
	v_mov_b32_e32 v3, s11
	v_add_co_u32_e32 v4, vcc, s10, v14
	s_cmp_lt_i32 s38, 11
	v_addc_co_u32_e32 v5, vcc, v3, v2, vcc
	s_cbranch_scc1 .LBB8_1199
; %bb.1193:
	s_cmp_gt_i32 s38, 25
	s_mov_b64 s[12:13], 0
	s_cbranch_scc0 .LBB8_1201
; %bb.1194:
	s_cmp_gt_i32 s38, 28
	s_cbranch_scc0 .LBB8_1202
; %bb.1195:
	s_cmp_gt_i32 s38, 43
	s_cbranch_scc0 .LBB8_1203
; %bb.1196:
	s_cmp_gt_i32 s38, 45
	s_cbranch_scc0 .LBB8_1205
; %bb.1197:
	s_cmp_eq_u32 s38, 46
	s_mov_b64 s[18:19], 0
	s_cbranch_scc0 .LBB8_1208
; %bb.1198:
	global_load_dword v2, v[4:5], off
	s_mov_b64 s[0:1], 0
	s_mov_b64 s[16:17], -1
	s_waitcnt vmcnt(0)
	v_lshlrev_b32_e32 v2, 16, v2
	v_cvt_f64_f32_e32 v[2:3], v2
	s_branch .LBB8_1209
.LBB8_1199:
	s_mov_b64 s[16:17], 0
                                        ; implicit-def: $vgpr2_vgpr3
	s_cbranch_execnz .LBB8_1274
.LBB8_1200:
	s_andn2_b64 vcc, exec, s[16:17]
	s_cbranch_vccnz .LBB8_1682
	s_branch .LBB8_1321
.LBB8_1201:
	s_mov_b64 s[16:17], 0
	s_mov_b64 s[0:1], 0
                                        ; implicit-def: $vgpr2_vgpr3
	s_cbranch_execnz .LBB8_1240
	s_branch .LBB8_1270
.LBB8_1202:
	s_mov_b64 s[18:19], -1
	s_mov_b64 s[16:17], 0
	s_mov_b64 s[0:1], 0
                                        ; implicit-def: $vgpr2_vgpr3
	s_branch .LBB8_1219
.LBB8_1203:
	s_mov_b64 s[18:19], -1
	s_mov_b64 s[16:17], 0
	s_mov_b64 s[0:1], 0
                                        ; implicit-def: $vgpr2_vgpr3
	s_branch .LBB8_1214
.LBB8_1204:
	s_or_b64 s[14:15], s[6:7], exec
	s_trap 2
	s_cbranch_execz .LBB8_1137
	s_branch .LBB8_1138
.LBB8_1205:
	s_mov_b64 s[18:19], -1
	s_mov_b64 s[16:17], 0
	s_mov_b64 s[0:1], 0
                                        ; implicit-def: $vgpr2_vgpr3
	s_branch .LBB8_1209
.LBB8_1206:
	s_andn2_saveexec_b64 s[24:25], s[24:25]
	s_cbranch_execz .LBB8_984
.LBB8_1207:
	s_mov_b32 s28, 0x42800000
	v_add_f32_e64 v3, |v2|, s28
	v_and_b32_e32 v3, 0xff, v3
	v_cmp_ne_u32_e32 vcc, 0, v3
	s_andn2_b64 s[22:23], s[22:23], exec
	s_and_b64 s[28:29], vcc, exec
	s_or_b64 s[22:23], s[22:23], s[28:29]
	s_or_b64 exec, exec, s[24:25]
	v_mov_b32_e32 v6, 0
	s_and_saveexec_b64 s[24:25], s[22:23]
	s_cbranch_execnz .LBB8_985
	s_branch .LBB8_986
.LBB8_1208:
	s_mov_b64 s[0:1], -1
                                        ; implicit-def: $vgpr2_vgpr3
	s_mov_b64 s[16:17], 0
.LBB8_1209:
	s_and_b64 vcc, exec, s[18:19]
	s_cbranch_vccz .LBB8_1213
; %bb.1210:
	s_cmp_eq_u32 s38, 44
	s_cbranch_scc0 .LBB8_1212
; %bb.1211:
	global_load_ubyte v6, v[4:5], off
	s_movk_i32 s16, 0xff
	v_bfrev_b32_e32 v7, 4
	v_mov_b32_e32 v8, 0x7ff80000
	v_bfrev_b32_e32 v9, 28
	s_mov_b64 s[0:1], 0
	s_waitcnt vmcnt(0)
	v_lshlrev_b32_e32 v2, 23, v6
	v_cvt_f64_f32_e32 v[2:3], v2
	v_cmp_ne_u32_e32 vcc, s16, v6
	s_mov_b64 s[16:17], -1
	v_cndmask_b32_e32 v2, v7, v2, vcc
	v_cndmask_b32_e32 v3, v8, v3, vcc
	v_cmp_ne_u32_e32 vcc, 0, v6
	v_cndmask_b32_e32 v3, v9, v3, vcc
	v_cndmask_b32_e32 v2, 0, v2, vcc
	s_branch .LBB8_1213
.LBB8_1212:
	s_mov_b64 s[0:1], -1
                                        ; implicit-def: $vgpr2_vgpr3
.LBB8_1213:
	s_mov_b64 s[18:19], 0
.LBB8_1214:
	s_and_b64 vcc, exec, s[18:19]
	s_cbranch_vccz .LBB8_1218
; %bb.1215:
	s_cmp_eq_u32 s38, 29
	s_cbranch_scc0 .LBB8_1217
; %bb.1216:
	global_load_dwordx2 v[2:3], v[4:5], off
	s_mov_b64 s[0:1], 0
	s_mov_b64 s[16:17], -1
	s_mov_b64 s[18:19], 0
	s_waitcnt vmcnt(0)
	v_cvt_f64_u32_e32 v[6:7], v3
	v_cvt_f64_u32_e32 v[2:3], v2
	v_ldexp_f64 v[6:7], v[6:7], 32
	v_add_f64 v[2:3], v[6:7], v[2:3]
	s_branch .LBB8_1219
.LBB8_1217:
	s_mov_b64 s[0:1], -1
                                        ; implicit-def: $vgpr2_vgpr3
.LBB8_1218:
	s_mov_b64 s[18:19], 0
.LBB8_1219:
	s_and_b64 vcc, exec, s[18:19]
	s_cbranch_vccz .LBB8_1239
; %bb.1220:
	s_cmp_lt_i32 s38, 27
	s_cbranch_scc1 .LBB8_1223
; %bb.1221:
	s_cmp_gt_i32 s38, 27
	s_cbranch_scc0 .LBB8_1224
; %bb.1222:
	global_load_dword v2, v[4:5], off
	s_mov_b64 s[16:17], 0
	s_waitcnt vmcnt(0)
	v_cvt_f64_u32_e32 v[2:3], v2
	s_branch .LBB8_1225
.LBB8_1223:
	s_mov_b64 s[16:17], -1
                                        ; implicit-def: $vgpr2_vgpr3
	s_branch .LBB8_1228
.LBB8_1224:
	s_mov_b64 s[16:17], -1
                                        ; implicit-def: $vgpr2_vgpr3
.LBB8_1225:
	s_andn2_b64 vcc, exec, s[16:17]
	s_cbranch_vccnz .LBB8_1227
; %bb.1226:
	global_load_ushort v2, v[4:5], off
	s_waitcnt vmcnt(0)
	v_cvt_f64_u32_e32 v[2:3], v2
.LBB8_1227:
	s_mov_b64 s[16:17], 0
.LBB8_1228:
	s_andn2_b64 vcc, exec, s[16:17]
	s_cbranch_vccnz .LBB8_1238
; %bb.1229:
	global_load_ubyte v6, v[4:5], off
	s_movk_i32 s16, 0x7f
	s_waitcnt vmcnt(0)
	v_cmp_lt_i16_e32 vcc, s16, v6
	s_mov_b64 s[16:17], 0
	s_and_saveexec_b64 s[18:19], vcc
	s_xor_b64 s[18:19], exec, s[18:19]
	s_cbranch_execz .LBB8_1233
; %bb.1230:
	s_movk_i32 s16, 0x80
	v_cmp_eq_u16_e32 vcc, s16, v6
	s_mov_b64 s[16:17], -1
	s_and_saveexec_b64 s[20:21], vcc
; %bb.1231:
	s_xor_b64 s[16:17], exec, -1
; %bb.1232:
	s_or_b64 exec, exec, s[20:21]
	s_and_b64 s[16:17], s[16:17], exec
.LBB8_1233:
	s_or_saveexec_b64 s[18:19], s[18:19]
	v_bfrev_b32_e32 v2, 4
	v_mov_b32_e32 v3, 0x7ff80000
	s_xor_b64 exec, exec, s[18:19]
; %bb.1234:
	v_cmp_ne_u16_e32 vcc, 0, v6
	v_mov_b32_e32 v2, 0
	s_andn2_b64 s[16:17], s[16:17], exec
	s_and_b64 s[20:21], vcc, exec
	v_mov_b32_e32 v3, 0
	s_or_b64 s[16:17], s[16:17], s[20:21]
; %bb.1235:
	s_or_b64 exec, exec, s[18:19]
	s_and_saveexec_b64 s[18:19], s[16:17]
	s_cbranch_execz .LBB8_1237
; %bb.1236:
	v_and_b32_e32 v3, 0xffff, v6
	v_lshlrev_b32_e32 v2, 24, v6
	v_and_b32_e32 v6, 7, v3
	v_ffbh_u32_e32 v8, v6
	v_min_u32_e32 v8, 32, v8
	v_subrev_u32_e32 v9, 28, v8
	v_bfe_u32 v7, v3, 3, 4
	v_lshlrev_b32_e32 v3, v9, v3
	v_sub_u32_e32 v8, 29, v8
	v_and_b32_e32 v3, 7, v3
	v_cmp_eq_u32_e32 vcc, 0, v7
	v_cndmask_b32_e32 v7, v7, v8, vcc
	v_cndmask_b32_e32 v3, v6, v3, vcc
	v_mov_b32_e32 v6, 0x3b800000
	v_lshlrev_b32_e32 v3, 20, v3
	v_and_b32_e32 v2, 0x80000000, v2
	v_lshl_add_u32 v6, v7, 23, v6
	v_or3_b32 v2, v2, v6, v3
	v_cvt_f64_f32_e32 v[2:3], v2
.LBB8_1237:
	s_or_b64 exec, exec, s[18:19]
.LBB8_1238:
	s_mov_b64 s[16:17], -1
.LBB8_1239:
	s_branch .LBB8_1270
.LBB8_1240:
	s_cmp_gt_i32 s38, 22
	s_cbranch_scc0 .LBB8_1252
; %bb.1241:
	s_cmp_lt_i32 s38, 24
	s_cbranch_scc1 .LBB8_1253
; %bb.1242:
	s_cmp_gt_i32 s38, 24
	s_cbranch_scc0 .LBB8_1254
; %bb.1243:
	global_load_ubyte v6, v[4:5], off
	s_movk_i32 s12, 0x7f
	s_waitcnt vmcnt(0)
	v_cmp_lt_i16_e32 vcc, s12, v6
	s_mov_b64 s[12:13], 0
	s_and_saveexec_b64 s[16:17], vcc
	s_xor_b64 s[16:17], exec, s[16:17]
	s_cbranch_execz .LBB8_1247
; %bb.1244:
	s_movk_i32 s12, 0x80
	v_cmp_eq_u16_e32 vcc, s12, v6
	s_mov_b64 s[12:13], -1
	s_and_saveexec_b64 s[18:19], vcc
; %bb.1245:
	s_xor_b64 s[12:13], exec, -1
; %bb.1246:
	s_or_b64 exec, exec, s[18:19]
	s_and_b64 s[12:13], s[12:13], exec
.LBB8_1247:
	s_or_saveexec_b64 s[16:17], s[16:17]
	v_bfrev_b32_e32 v2, 4
	v_mov_b32_e32 v3, 0x7ff80000
	s_xor_b64 exec, exec, s[16:17]
; %bb.1248:
	v_cmp_ne_u16_e32 vcc, 0, v6
	v_mov_b32_e32 v2, 0
	s_andn2_b64 s[12:13], s[12:13], exec
	s_and_b64 s[18:19], vcc, exec
	v_mov_b32_e32 v3, 0
	s_or_b64 s[12:13], s[12:13], s[18:19]
; %bb.1249:
	s_or_b64 exec, exec, s[16:17]
	s_and_saveexec_b64 s[16:17], s[12:13]
	s_cbranch_execz .LBB8_1251
; %bb.1250:
	v_and_b32_e32 v3, 0xffff, v6
	v_lshlrev_b32_e32 v2, 24, v6
	v_and_b32_e32 v6, 3, v3
	v_ffbh_u32_e32 v8, v6
	v_min_u32_e32 v8, 32, v8
	v_subrev_u32_e32 v9, 29, v8
	v_bfe_u32 v7, v3, 2, 5
	v_lshlrev_b32_e32 v3, v9, v3
	v_sub_u32_e32 v8, 30, v8
	v_and_b32_e32 v3, 3, v3
	v_cmp_eq_u32_e32 vcc, 0, v7
	v_cndmask_b32_e32 v7, v7, v8, vcc
	v_cndmask_b32_e32 v3, v6, v3, vcc
	v_mov_b32_e32 v6, 0x37800000
	v_lshlrev_b32_e32 v3, 21, v3
	v_and_b32_e32 v2, 0x80000000, v2
	v_lshl_add_u32 v6, v7, 23, v6
	v_or3_b32 v2, v2, v6, v3
	v_cvt_f64_f32_e32 v[2:3], v2
.LBB8_1251:
	s_or_b64 exec, exec, s[16:17]
	s_mov_b64 s[12:13], 0
	s_branch .LBB8_1255
.LBB8_1252:
	s_mov_b64 s[12:13], -1
                                        ; implicit-def: $vgpr2_vgpr3
	s_branch .LBB8_1261
.LBB8_1253:
	s_mov_b64 s[12:13], -1
                                        ; implicit-def: $vgpr2_vgpr3
	s_branch .LBB8_1258
.LBB8_1254:
	s_mov_b64 s[12:13], -1
                                        ; implicit-def: $vgpr2_vgpr3
.LBB8_1255:
	s_and_b64 vcc, exec, s[12:13]
	s_cbranch_vccz .LBB8_1257
; %bb.1256:
	global_load_ubyte v2, v[4:5], off
	s_mov_b32 s12, 0x7f800000
	s_waitcnt vmcnt(0)
	v_lshlrev_b32_e32 v2, 24, v2
	v_and_b32_e32 v3, 0x7f000000, v2
	v_ffbh_u32_e32 v6, v3
	v_min_u32_e32 v6, 32, v6
	v_sub_u32_e64 v6, v6, 4 clamp
	v_lshlrev_b32_e32 v8, v6, v3
	v_lshlrev_b32_e32 v6, 23, v6
	v_lshrrev_b32_e32 v8, 4, v8
	v_add_u32_e32 v7, 0x1000000, v3
	v_sub_u32_e32 v6, v8, v6
	v_ashrrev_i32_e32 v7, 8, v7
	v_add_u32_e32 v6, 0x3c000000, v6
	v_and_or_b32 v6, v7, s12, v6
	v_cmp_ne_u32_e32 vcc, 0, v3
	v_cndmask_b32_e32 v3, 0, v6, vcc
	s_brev_b32 s12, 1
	v_and_or_b32 v2, v2, s12, v3
	v_cvt_f64_f32_e32 v[2:3], v2
.LBB8_1257:
	s_mov_b64 s[12:13], 0
.LBB8_1258:
	s_andn2_b64 vcc, exec, s[12:13]
	s_cbranch_vccnz .LBB8_1260
; %bb.1259:
	global_load_ubyte v2, v[4:5], off
	s_movk_i32 s12, 0x7f00
	s_brev_b32 s13, 16
	s_waitcnt vmcnt(0)
	v_lshlrev_b16_e32 v3, 8, v2
	v_lshlrev_b32_e32 v2, 25, v2
	v_lshrrev_b32_e32 v6, 4, v2
	v_and_or_b32 v7, v3, s12, 0.5
	v_or_b32_e32 v6, 0x70000000, v6
	v_add_f32_e32 v7, -0.5, v7
	v_mul_f32_e32 v6, 0x7800000, v6
	v_cmp_gt_u32_e32 vcc, s13, v2
	v_bfe_i32 v3, v3, 0, 16
	v_cndmask_b32_e32 v2, v6, v7, vcc
	s_brev_b32 s12, 1
	v_and_or_b32 v2, v3, s12, v2
	v_cvt_f64_f32_e32 v[2:3], v2
.LBB8_1260:
	s_mov_b64 s[12:13], 0
	s_mov_b64 s[16:17], -1
.LBB8_1261:
	s_andn2_b64 vcc, exec, s[12:13]
	s_mov_b64 s[12:13], 0
	s_cbranch_vccnz .LBB8_1270
; %bb.1262:
	s_cmp_gt_i32 s38, 14
	s_cbranch_scc0 .LBB8_1265
; %bb.1263:
	s_cmp_eq_u32 s38, 15
	s_cbranch_scc0 .LBB8_1266
; %bb.1264:
	global_load_ushort v2, v[4:5], off
	s_mov_b64 s[0:1], 0
	s_mov_b64 s[16:17], -1
	s_waitcnt vmcnt(0)
	v_lshlrev_b32_e32 v2, 16, v2
	v_cvt_f64_f32_e32 v[2:3], v2
	s_branch .LBB8_1267
.LBB8_1265:
	s_mov_b64 s[18:19], -1
                                        ; implicit-def: $vgpr2_vgpr3
	s_branch .LBB8_1268
.LBB8_1266:
	s_mov_b64 s[0:1], -1
                                        ; implicit-def: $vgpr2_vgpr3
.LBB8_1267:
	s_mov_b64 s[18:19], 0
.LBB8_1268:
	s_and_b64 vcc, exec, s[18:19]
	s_cbranch_vccz .LBB8_1270
; %bb.1269:
	s_cmp_lg_u32 s38, 11
	s_mov_b64 s[12:13], -1
	s_cselect_b64 s[0:1], -1, 0
.LBB8_1270:
	s_and_b64 vcc, exec, s[0:1]
	s_cbranch_vccnz .LBB8_1341
; %bb.1271:
	s_andn2_b64 vcc, exec, s[12:13]
	s_cbranch_vccnz .LBB8_1273
.LBB8_1272:
	global_load_ubyte v3, v[4:5], off
	v_mov_b32_e32 v6, 0x3ff00000
	v_mov_b32_e32 v2, 0
	s_mov_b64 s[16:17], -1
	s_waitcnt vmcnt(0)
	v_cmp_ne_u16_e32 vcc, 0, v3
	v_cndmask_b32_e32 v3, 0, v6, vcc
.LBB8_1273:
	s_branch .LBB8_1200
.LBB8_1274:
	s_cmp_lt_i32 s38, 5
	s_cbranch_scc1 .LBB8_1279
; %bb.1275:
	s_cmp_lt_i32 s38, 8
	s_cbranch_scc1 .LBB8_1280
; %bb.1276:
	;; [unrolled: 3-line block ×3, first 2 shown]
	s_cmp_gt_i32 s38, 9
	s_cbranch_scc0 .LBB8_1282
; %bb.1278:
	global_load_dwordx2 v[2:3], v[4:5], off
	s_mov_b64 s[0:1], 0
	s_branch .LBB8_1283
.LBB8_1279:
                                        ; implicit-def: $vgpr2_vgpr3
	s_branch .LBB8_1301
.LBB8_1280:
	s_mov_b64 s[0:1], -1
                                        ; implicit-def: $vgpr2_vgpr3
	s_branch .LBB8_1289
.LBB8_1281:
	s_mov_b64 s[0:1], -1
                                        ; implicit-def: $vgpr2_vgpr3
	s_branch .LBB8_1286
.LBB8_1282:
	s_mov_b64 s[0:1], -1
                                        ; implicit-def: $vgpr2_vgpr3
.LBB8_1283:
	s_andn2_b64 vcc, exec, s[0:1]
	s_cbranch_vccnz .LBB8_1285
; %bb.1284:
	global_load_dword v2, v[4:5], off
	s_waitcnt vmcnt(0)
	v_cvt_f64_f32_e32 v[2:3], v2
.LBB8_1285:
	s_mov_b64 s[0:1], 0
.LBB8_1286:
	s_andn2_b64 vcc, exec, s[0:1]
	s_cbranch_vccnz .LBB8_1288
; %bb.1287:
	global_load_dword v2, v[4:5], off
	s_waitcnt vmcnt(0)
	v_cvt_f32_f16_e32 v2, v2
	v_cvt_f64_f32_e32 v[2:3], v2
.LBB8_1288:
	s_mov_b64 s[0:1], 0
.LBB8_1289:
	s_andn2_b64 vcc, exec, s[0:1]
	s_cbranch_vccnz .LBB8_1300
; %bb.1290:
	s_cmp_lt_i32 s38, 6
	s_cbranch_scc1 .LBB8_1293
; %bb.1291:
	s_cmp_gt_i32 s38, 6
	s_cbranch_scc0 .LBB8_1294
; %bb.1292:
	global_load_dwordx2 v[2:3], v[4:5], off
	s_mov_b64 s[0:1], 0
	s_branch .LBB8_1295
.LBB8_1293:
	s_mov_b64 s[0:1], -1
                                        ; implicit-def: $vgpr2_vgpr3
	s_branch .LBB8_1298
.LBB8_1294:
	s_mov_b64 s[0:1], -1
                                        ; implicit-def: $vgpr2_vgpr3
.LBB8_1295:
	s_andn2_b64 vcc, exec, s[0:1]
	s_cbranch_vccnz .LBB8_1297
; %bb.1296:
	global_load_dword v2, v[4:5], off
	s_waitcnt vmcnt(0)
	v_cvt_f64_f32_e32 v[2:3], v2
.LBB8_1297:
	s_mov_b64 s[0:1], 0
.LBB8_1298:
	s_andn2_b64 vcc, exec, s[0:1]
	s_cbranch_vccnz .LBB8_1300
; %bb.1299:
	global_load_ushort v2, v[4:5], off
	s_waitcnt vmcnt(0)
	v_cvt_f32_f16_e32 v2, v2
	v_cvt_f64_f32_e32 v[2:3], v2
.LBB8_1300:
	s_cbranch_execnz .LBB8_1320
.LBB8_1301:
	s_cmp_lt_i32 s38, 2
	s_cbranch_scc1 .LBB8_1305
; %bb.1302:
	s_cmp_lt_i32 s38, 3
	s_cbranch_scc1 .LBB8_1306
; %bb.1303:
	s_cmp_gt_i32 s38, 3
	s_cbranch_scc0 .LBB8_1307
; %bb.1304:
	global_load_dwordx2 v[2:3], v[4:5], off
	s_mov_b64 s[0:1], 0
	s_waitcnt vmcnt(0)
	v_cvt_f64_i32_e32 v[6:7], v3
	v_cvt_f64_u32_e32 v[2:3], v2
	v_ldexp_f64 v[6:7], v[6:7], 32
	v_add_f64 v[2:3], v[6:7], v[2:3]
	s_branch .LBB8_1308
.LBB8_1305:
	s_mov_b64 s[0:1], -1
                                        ; implicit-def: $vgpr2_vgpr3
	s_branch .LBB8_1314
.LBB8_1306:
	s_mov_b64 s[0:1], -1
                                        ; implicit-def: $vgpr2_vgpr3
	s_branch .LBB8_1311
.LBB8_1307:
	s_mov_b64 s[0:1], -1
                                        ; implicit-def: $vgpr2_vgpr3
.LBB8_1308:
	s_andn2_b64 vcc, exec, s[0:1]
	s_cbranch_vccnz .LBB8_1310
; %bb.1309:
	global_load_dword v2, v[4:5], off
	s_waitcnt vmcnt(0)
	v_cvt_f64_i32_e32 v[2:3], v2
.LBB8_1310:
	s_mov_b64 s[0:1], 0
.LBB8_1311:
	s_andn2_b64 vcc, exec, s[0:1]
	s_cbranch_vccnz .LBB8_1313
; %bb.1312:
	global_load_sshort v2, v[4:5], off
	s_waitcnt vmcnt(0)
	v_cvt_f64_i32_e32 v[2:3], v2
.LBB8_1313:
	s_mov_b64 s[0:1], 0
.LBB8_1314:
	s_andn2_b64 vcc, exec, s[0:1]
	s_cbranch_vccnz .LBB8_1320
; %bb.1315:
	s_cmp_gt_i32 s38, 0
	s_cbranch_scc0 .LBB8_1317
; %bb.1316:
	global_load_sbyte v2, v[4:5], off
	s_mov_b64 s[0:1], 0
	s_waitcnt vmcnt(0)
	v_cvt_f64_i32_e32 v[2:3], v2
	s_branch .LBB8_1318
.LBB8_1317:
	s_mov_b64 s[0:1], -1
                                        ; implicit-def: $vgpr2_vgpr3
.LBB8_1318:
	s_andn2_b64 vcc, exec, s[0:1]
	s_cbranch_vccnz .LBB8_1320
; %bb.1319:
	global_load_ubyte v2, v[4:5], off
	s_waitcnt vmcnt(0)
	v_cvt_f64_u32_e32 v[2:3], v2
.LBB8_1320:
.LBB8_1321:
	s_waitcnt vmcnt(0)
	v_cmp_neq_f64_e32 vcc, 0, v[2:3]
	v_mov_b32_e32 v4, 0
	v_mov_b32_e32 v5, 0x7ff00000
	s_and_saveexec_b64 s[12:13], vcc
	s_cbranch_execz .LBB8_1329
; %bb.1322:
	v_cmp_ngt_f64_e32 vcc, 0, v[2:3]
	v_mov_b32_e32 v4, 0
	v_mov_b32_e32 v5, 0x7ff80000
	s_and_saveexec_b64 s[16:17], vcc
	s_cbranch_execz .LBB8_1328
; %bb.1323:
	v_cmp_ge_f64_e32 vcc, 2.0, v[2:3]
                                        ; implicit-def: $vgpr4_vgpr5
	s_and_saveexec_b64 s[0:1], vcc
	s_xor_b64 s[18:19], exec, s[0:1]
	s_cbranch_execz .LBB8_1325
; %bb.1324:
	v_fma_f64 v[4:5], v[2:3], 0.5, -2.0
	v_mov_b32_e32 v6, 0x977da589
	v_mov_b32_e32 v7, 0x3c833362
	s_mov_b32 s1, 0xbc545cb7
	s_mov_b32 s0, 0x2134d0ef
	s_mov_b32 s21, 0x3fe55555
	s_mov_b32 s20, 0x55555555
	s_mov_b32 s22, 0x59c41d5a
	v_fma_f64 v[6:7], v[4:5], s[0:1], v[6:7]
	s_mov_b32 s1, 0x3c545cb7
	s_mov_b32 s23, 0xbf0e2b26
	;; [unrolled: 1-line block ×7, first 2 shown]
	v_fma_f64 v[8:9], v[4:5], v[6:7], s[0:1]
	s_mov_b32 s0, 0x721ebbb4
	s_mov_b32 s1, 0xbcb184eb
	;; [unrolled: 1-line block ×7, first 2 shown]
	v_add_f64 v[8:9], v[8:9], s[0:1]
	s_mov_b32 s0, 0x93f65eba
	s_mov_b32 s1, 0x3cdee6d8
	v_mul_f64 v[35:36], v[2:3], s[44:45]
	s_mov_b32 s31, 0x3fe62e42
	s_mov_b32 s30, 0xfefa39ef
	;; [unrolled: 1-line block ×4, first 2 shown]
	v_fma_f64 v[6:7], v[4:5], v[8:9], -v[6:7]
	s_mov_b32 s27, 0x3c7abc9e
	s_mov_b32 s26, 0x3b39803f
	;; [unrolled: 1-line block ×4, first 2 shown]
	v_add_f64 v[6:7], v[6:7], s[0:1]
	s_mov_b32 s0, 0xc297fbeb
	s_mov_b32 s1, 0xbd0a5022
	v_fma_f64 v[8:9], v[4:5], v[6:7], -v[8:9]
	v_add_f64 v[8:9], v[8:9], s[0:1]
	s_mov_b32 s0, 0x4b262627
	s_mov_b32 s1, 0x3d359b46
	v_fma_f64 v[6:7], v[4:5], v[8:9], -v[6:7]
	v_add_f64 v[6:7], v[6:7], s[0:1]
	s_mov_b32 s0, 0x62ee1af0
	s_mov_b32 s1, 0xbd61164c
	v_fma_f64 v[8:9], v[4:5], v[6:7], -v[8:9]
	v_add_f64 v[8:9], v[8:9], s[0:1]
	s_mov_b32 s0, 0xe19bd324
	s_mov_b32 s1, 0x3d89fe2f
	v_fma_f64 v[6:7], v[4:5], v[8:9], -v[6:7]
	v_add_f64 v[10:11], v[6:7], s[0:1]
	v_mul_f64 v[6:7], v[2:3], 0.5
	s_mov_b32 s0, 0x7a946abc
	s_mov_b32 s1, 0xbdb2fc95
	v_fma_f64 v[8:9], v[4:5], v[10:11], -v[8:9]
	v_frexp_mant_f64_e32 v[12:13], v[6:7]
	v_frexp_exp_i32_f64_e32 v25, v[6:7]
	v_add_f64 v[8:9], v[8:9], s[0:1]
	v_cmp_gt_f64_e32 vcc, s[20:21], v[12:13]
	s_mov_b32 s0, 0xcc743c10
	s_mov_b32 s1, 0x3dda98be
	;; [unrolled: 1-line block ×3, first 2 shown]
	v_fma_f64 v[10:11], v[4:5], v[8:9], -v[10:11]
	v_cndmask_b32_e64 v15, 0, 1, vcc
	v_ldexp_f64 v[12:13], v[12:13], v15
	v_subbrev_co_u32_e32 v25, vcc, 0, v25, vcc
	v_add_f64 v[10:11], v[10:11], s[0:1]
	s_mov_b32 s0, 0x13ae9556
	v_add_f64 v[15:16], v[12:13], 1.0
	s_mov_b32 s1, 0xbe01d4fe
	v_add_f64 v[21:22], v[12:13], -1.0
	v_fma_f64 v[8:9], v[4:5], v[10:11], -v[8:9]
	v_rcp_f64_e32 v[17:18], v[15:16]
	v_add_f64 v[23:24], v[15:16], -1.0
	v_add_f64 v[8:9], v[8:9], s[0:1]
	s_mov_b32 s0, 0xa454cb34
	s_mov_b32 s1, 0x3e26d903
	v_add_f64 v[12:13], v[12:13], -v[23:24]
	v_fma_f64 v[10:11], v[4:5], v[8:9], -v[10:11]
	v_fma_f64 v[19:20], -v[15:16], v[17:18], 1.0
	v_fma_f64 v[17:18], v[19:20], v[17:18], v[17:18]
	v_add_f64 v[19:20], v[10:11], s[0:1]
	s_mov_b32 s0, 0x8c0b30ab
	s_mov_b32 s1, 0xbe4beaf6
	v_fma_f64 v[10:11], -v[15:16], v[17:18], 1.0
	v_fma_f64 v[8:9], v[4:5], v[19:20], -v[8:9]
	v_fma_f64 v[17:18], v[10:11], v[17:18], v[17:18]
	v_add_f64 v[8:9], v[8:9], s[0:1]
	s_mov_b32 s0, 0x9d4d6435
	s_mov_b32 s1, 0x3e703b76
	v_mul_f64 v[10:11], v[21:22], v[17:18]
	v_fma_f64 v[19:20], v[4:5], v[8:9], -v[19:20]
	v_mul_f64 v[27:28], v[15:16], v[10:11]
	v_add_f64 v[19:20], v[19:20], s[0:1]
	s_mov_b32 s0, 0x8f227f8d
	s_mov_b32 s1, 0xbe91ec63
	v_fma_f64 v[15:16], v[10:11], v[15:16], -v[27:28]
	v_fma_f64 v[8:9], v[4:5], v[19:20], -v[8:9]
	v_fma_f64 v[12:13], v[10:11], v[12:13], v[15:16]
	v_add_f64 v[8:9], v[8:9], s[0:1]
	s_mov_b32 s0, 0x978cf4ac
	s_mov_b32 s1, 0x3eb2bf24
	v_add_f64 v[15:16], v[27:28], v[12:13]
	v_fma_f64 v[19:20], v[4:5], v[8:9], -v[19:20]
	v_add_f64 v[23:24], v[21:22], -v[15:16]
	v_add_f64 v[19:20], v[19:20], s[0:1]
	v_add_f64 v[27:28], v[15:16], -v[27:28]
	s_mov_b32 s0, 0xcba56427
	s_mov_b32 s1, 0xbed2866f
	v_add_f64 v[21:22], v[21:22], -v[23:24]
	v_fma_f64 v[8:9], v[4:5], v[19:20], -v[8:9]
	v_add_f64 v[12:13], v[27:28], -v[12:13]
	v_mov_b32_e32 v27, 0xc384c2aa
	v_mov_b32_e32 v28, 0x3d27fb0a
	v_add_f64 v[15:16], v[21:22], -v[15:16]
	v_add_f64 v[8:9], v[8:9], s[0:1]
	s_mov_b32 s0, 0xbe9a2859
	s_mov_b32 s1, 0x3ef13f58
	v_add_f64 v[12:13], v[12:13], v[15:16]
	v_fma_f64 v[15:16], v[4:5], v[8:9], -v[19:20]
	v_add_f64 v[12:13], v[23:24], v[12:13]
	v_add_f64 v[15:16], v[15:16], s[0:1]
	s_mov_b32 s0, 0xbf559e2b
	s_mov_b32 s1, 0x3fc3ab76
	v_mul_f64 v[12:13], v[17:18], v[12:13]
	v_fma_f64 v[8:9], v[4:5], v[15:16], -v[8:9]
	v_mov_b32_e32 v17, 0x6b47b09a
	v_mov_b32_e32 v18, 0x3fc38538
	v_add_f64 v[19:20], v[10:11], v[12:13]
	v_add_f64 v[21:22], v[8:9], s[22:23]
	s_mov_b32 s22, 0xd7f4df2e
	s_mov_b32 s23, 0x3fc7474d
	v_mul_f64 v[23:24], v[19:20], v[19:20]
	v_fma_f64 v[8:9], v[4:5], v[21:22], -v[15:16]
	v_add_f64 v[10:11], v[19:20], -v[10:11]
	v_fma_f64 v[15:16], v[23:24], s[0:1], v[17:18]
	s_mov_b32 s0, 0x74107cab
	s_mov_b32 s1, 0x3f28b51b
	v_add_f64 v[17:18], v[8:9], s[0:1]
	s_mov_b32 s0, 0x1f15eb52
	s_mov_b32 s1, 0xbf42e2fd
	v_fma_f64 v[8:9], v[2:3], v[2:3], -2.0
	v_mul_f64 v[29:30], v[19:20], v[23:24]
	v_fma_f64 v[15:16], v[23:24], v[15:16], s[22:23]
	v_add_f64 v[12:13], v[12:13], -v[10:11]
	v_rndne_f64_e32 v[10:11], v[35:36]
	v_fma_f64 v[21:22], v[4:5], v[17:18], -v[21:22]
	s_mov_b32 s22, 0x75633d73
	s_mov_b32 s23, 0x3f54b82e
	v_fma_f64 v[15:16], v[23:24], v[15:16], s[24:25]
	v_ldexp_f64 v[12:13], v[12:13], 1
	s_mov_b32 s24, 0xfe8cfca0
	v_add_f64 v[21:22], v[21:22], s[0:1]
	s_mov_b32 s25, 0x3ef7f900
	s_mov_b32 s0, 0x554a9085
	;; [unrolled: 1-line block ×3, first 2 shown]
	v_fma_f64 v[15:16], v[23:24], v[15:16], s[28:29]
	s_mov_b32 s28, 0xe7f95efc
	s_mov_b32 s29, 0x3e9102bc
	v_fma_f64 v[17:18], v[4:5], v[21:22], -v[17:18]
	v_fma_f64 v[15:16], v[23:24], v[15:16], s[36:37]
	s_mov_b32 s36, 0x8a12100e
	s_mov_b32 s37, 0x3f5adc75
	v_add_f64 v[17:18], v[17:18], s[36:37]
	s_mov_b32 s36, 0xf3dde3dd
	s_mov_b32 s37, 0x3f859961
	v_fma_f64 v[15:16], v[23:24], v[15:16], s[20:21]
	s_mov_b32 s20, 0x201aa849
	s_mov_b32 s21, 0xbf71b65e
	v_fma_f64 v[21:22], v[4:5], v[17:18], -v[21:22]
	v_fma_f64 v[23:24], v[8:9], s[40:41], v[27:28]
	v_ldexp_f64 v[27:28], v[19:20], 1
	s_mov_b32 s41, 0xbca3cee1
	v_mul_f64 v[15:16], v[29:30], v[15:16]
	v_cvt_f64_i32_e32 v[29:30], v25
	v_add_f64 v[19:20], v[21:22], s[20:21]
	v_fma_f64 v[33:34], v[8:9], v[23:24], s[40:41]
	v_mul_f64 v[21:22], v[29:30], s[30:31]
	s_mov_b32 s20, 0xf121b6f0
	s_mov_b32 s21, 0xbf984e9e
	v_add_f64 v[31:32], v[27:28], v[15:16]
	v_fma_f64 v[17:18], v[4:5], v[19:20], -v[17:18]
	v_add_f64 v[33:34], v[33:34], s[42:43]
	v_fma_f64 v[37:38], v[29:30], s[30:31], -v[21:22]
	s_mov_b32 s31, 0xbfe62e42
	v_fma_f64 v[2:3], v[10:11], s[30:31], v[2:3]
	v_add_f64 v[27:28], v[31:32], -v[27:28]
	v_add_f64 v[17:18], v[17:18], s[36:37]
	v_fma_f64 v[23:24], v[8:9], v[33:34], -v[23:24]
	v_fma_f64 v[29:30], v[29:30], s[26:27], v[37:38]
	s_mov_b32 s27, 0xbc7abc9e
	v_fma_f64 v[2:3], v[10:11], s[26:27], v[2:3]
	v_add_f64 v[15:16], v[15:16], -v[27:28]
	s_mov_b32 s36, 0xcea8a32d
	s_mov_b32 s37, 0x3fa93e8a
	v_fma_f64 v[19:20], v[4:5], v[17:18], -v[19:20]
	v_add_f64 v[23:24], v[23:24], s[34:35]
	v_add_f64 v[27:28], v[21:22], v[29:30]
	s_mov_b32 s26, 0x7c89e6b0
	s_mov_b32 s27, 0x3efa0199
	v_add_f64 v[12:13], v[12:13], v[15:16]
	v_mov_b32_e32 v15, 0xfca7ab0c
	v_mov_b32_e32 v16, 0x3e928af3
	v_add_f64 v[19:20], v[19:20], s[20:21]
	s_mov_b32 s20, 0x6a5dcb37
	s_mov_b32 s21, 0x3e5ade15
	v_fma_f64 v[15:16], v[2:3], s[20:21], v[15:16]
	v_add_f64 v[21:22], v[27:28], -v[21:22]
	v_add_f64 v[35:36], v[31:32], v[12:13]
	v_fma_f64 v[33:34], v[8:9], v[23:24], -v[33:34]
	s_mov_b32 s20, 0x623fde64
	v_fma_f64 v[17:18], v[4:5], v[19:20], -v[17:18]
	s_mov_b32 s21, 0x3ec71dee
	v_fma_f64 v[15:16], v[2:3], v[15:16], s[20:21]
	v_add_f64 v[21:22], v[29:30], -v[21:22]
	v_add_f64 v[29:30], v[35:36], -v[31:32]
	v_add_f64 v[31:32], v[27:28], v[35:36]
	v_add_f64 v[33:34], v[33:34], s[28:29]
	;; [unrolled: 1-line block ×3, first 2 shown]
	s_mov_b32 s20, 0x342d06ea
	s_mov_b32 s21, 0xbfb84b70
	v_fma_f64 v[15:16], v[2:3], v[15:16], s[26:27]
	s_mov_b32 s26, 0x14761f6e
	v_add_f64 v[12:13], v[12:13], -v[29:30]
	v_add_f64 v[29:30], v[31:32], -v[27:28]
	v_fma_f64 v[23:24], v[8:9], v[33:34], -v[23:24]
	v_fma_f64 v[19:20], v[4:5], v[17:18], -v[19:20]
	s_mov_b32 s27, 0x3f2a01a0
	v_fma_f64 v[15:16], v[2:3], v[15:16], s[26:27]
	s_mov_b32 s26, 0x11122322
	s_mov_b32 s27, 0x3f811111
	v_add_f64 v[35:36], v[35:36], -v[29:30]
	v_add_f64 v[29:30], v[31:32], -v[29:30]
	v_add_f64 v[19:20], v[19:20], s[20:21]
	v_add_f64 v[23:24], v[23:24], s[24:25]
	s_mov_b32 s24, 0x1852b7b0
	s_mov_b32 s25, 0x3f56c16c
	v_fma_f64 v[15:16], v[2:3], v[15:16], s[24:25]
	s_mov_b32 s20, 0x77ac88c0
	s_mov_b32 s21, 0x3fc5f7ac
	v_add_f64 v[27:28], v[27:28], -v[29:30]
	v_fma_f64 v[17:18], v[4:5], v[19:20], -v[17:18]
	v_fma_f64 v[29:30], v[8:9], v[23:24], -v[33:34]
	v_add_f64 v[33:34], v[21:22], v[12:13]
	s_mov_b32 s24, 0xc057cd8d
	v_fma_f64 v[15:16], v[2:3], v[15:16], s[26:27]
	s_mov_b32 s25, 0xbfd37feb
	v_add_f64 v[27:28], v[35:36], v[27:28]
	v_add_f64 v[17:18], v[17:18], s[20:21]
	;; [unrolled: 1-line block ×3, first 2 shown]
	s_mov_b32 s20, 0x555502a1
	s_mov_b32 s21, 0x3fa55555
	v_fma_f64 v[15:16], v[2:3], v[15:16], s[20:21]
	v_add_f64 v[35:36], v[33:34], -v[21:22]
	s_mov_b32 s20, 0x55555511
	v_add_f64 v[27:28], v[33:34], v[27:28]
	v_fma_f64 v[19:20], v[4:5], v[17:18], -v[19:20]
	v_fma_f64 v[23:24], v[8:9], v[29:30], -v[23:24]
	s_mov_b32 s21, 0x3fc55555
	v_fma_f64 v[15:16], v[2:3], v[15:16], s[20:21]
	v_add_f64 v[33:34], v[33:34], -v[35:36]
	v_add_f64 v[12:13], v[12:13], -v[35:36]
	v_add_f64 v[35:36], v[31:32], v[27:28]
	v_add_f64 v[19:20], v[19:20], s[24:25]
	;; [unrolled: 1-line block ×3, first 2 shown]
	s_mov_b32 s20, 11
	s_mov_b32 s21, 0x3fe00000
	v_fma_f64 v[15:16], v[2:3], v[15:16], s[20:21]
	v_add_f64 v[21:22], v[21:22], -v[33:34]
	s_mov_b32 s20, 0x9035a22a
	v_add_f64 v[31:32], v[35:36], -v[31:32]
	v_fma_f64 v[4:5], v[4:5], v[19:20], -v[17:18]
	v_fma_f64 v[29:30], v[8:9], v[23:24], -v[29:30]
	s_mov_b32 s21, 0x3fe5a84e
	s_mov_b32 s0, 0x81213db9
	v_fma_f64 v[15:16], v[2:3], v[15:16], 1.0
	s_mov_b32 s1, 0x3fd608d8
	v_add_f64 v[12:13], v[12:13], v[21:22]
	v_add_f64 v[19:20], v[27:28], -v[31:32]
	v_add_f64 v[4:5], v[4:5], s[20:21]
	v_add_f64 v[21:22], v[29:30], s[0:1]
	s_mov_b32 s0, 0xe9d2f61f
	s_mov_b32 s1, 0xbfe12166
	v_fma_f64 v[2:3], v[2:3], v[15:16], 1.0
	v_cvt_i32_f64_e32 v15, v[10:11]
	v_add_f64 v[12:13], v[12:13], v[19:20]
	v_add_f64 v[4:5], v[4:5], -v[17:18]
	v_fma_f64 v[8:9], v[8:9], v[21:22], -v[23:24]
	v_ldexp_f64 v[2:3], v[2:3], v15
	v_add_f64 v[10:11], v[35:36], v[12:13]
	v_mul_f64 v[4:5], v[4:5], 0.5
	v_add_f64 v[8:9], v[8:9], s[0:1]
	s_mov_b32 s0, 0
	s_mov_b32 s1, 0x7ff00000
	v_cmp_neq_f64_e32 vcc, s[0:1], v[6:7]
	v_cmp_neq_f64_e64 s[0:1], 0, v[6:7]
	v_mov_b32_e32 v12, 0x7ff00000
	v_mul_f64 v[4:5], v[2:3], v[4:5]
	v_add_f64 v[6:7], v[8:9], -v[23:24]
	v_cndmask_b32_e32 v11, v12, v11, vcc
	v_mov_b32_e32 v12, 0xfff00000
	s_and_b64 vcc, s[0:1], vcc
	v_cndmask_b32_e64 v9, v12, v11, s[0:1]
	v_cndmask_b32_e32 v8, 0, v10, vcc
	v_mul_f64 v[4:5], v[8:9], v[4:5]
	v_fma_f64 v[4:5], v[6:7], 0.5, -v[4:5]
	v_mul_f64 v[4:5], v[2:3], v[4:5]
                                        ; implicit-def: $vgpr2_vgpr3
.LBB8_1325:
	s_andn2_saveexec_b64 s[0:1], s[18:19]
	s_cbranch_execz .LBB8_1327
; %bb.1326:
	s_mov_b32 s18, 0
	s_mov_b32 s19, 0x40200000
	v_div_scale_f64 v[4:5], s[20:21], v[2:3], v[2:3], s[18:19]
	v_rcp_f64_e32 v[6:7], v[4:5]
	v_fma_f64 v[8:9], -v[4:5], v[6:7], 1.0
	v_fma_f64 v[6:7], v[6:7], v[8:9], v[6:7]
	v_div_scale_f64 v[8:9], vcc, s[18:19], v[2:3], s[18:19]
	v_fma_f64 v[10:11], -v[4:5], v[6:7], 1.0
	v_fma_f64 v[6:7], v[6:7], v[10:11], v[6:7]
	v_mul_f64 v[10:11], v[8:9], v[6:7]
	v_fma_f64 v[4:5], -v[4:5], v[10:11], v[8:9]
	v_div_fmas_f64 v[4:5], v[4:5], v[6:7], v[10:11]
	v_mov_b32_e32 v6, 0x93812603
	v_mov_b32_e32 v7, 0xbc72fecc
	;; [unrolled: 1-line block ×3, first 2 shown]
	v_div_fixup_f64 v[4:5], v[4:5], v[2:3], s[18:19]
	s_mov_b32 s19, 0x3c5871a5
	s_mov_b32 s18, 0xcf8c9ee1
	v_add_f64 v[4:5], v[4:5], -2.0
	v_fma_f64 v[6:7], v[4:5], s[18:19], v[6:7]
	s_mov_b32 s19, 0xbc5871a5
	v_fma_f64 v[8:9], v[4:5], v[6:7], s[18:19]
	s_mov_b32 s18, 0x41a8cdf4
	s_mov_b32 s19, 0x3c8e092e
	v_add_f64 v[8:9], v[8:9], s[18:19]
	s_mov_b32 s18, 0x74d77641
	s_mov_b32 s19, 0xbca82f94
	v_fma_f64 v[6:7], v[4:5], v[8:9], -v[6:7]
	v_add_f64 v[6:7], v[6:7], s[18:19]
	s_mov_b32 s18, 0x6b94785b
	s_mov_b32 s19, 0x3cc3dbf9
	v_fma_f64 v[8:9], v[4:5], v[6:7], -v[8:9]
	v_add_f64 v[8:9], v[8:9], s[18:19]
	s_mov_b32 s18, 0xecfadd36
	s_mov_b32 s19, 0xbce0a690
	v_fma_f64 v[6:7], v[4:5], v[8:9], -v[6:7]
	v_add_f64 v[6:7], v[6:7], s[18:19]
	s_mov_b32 s18, 0x4a7ddc98
	s_mov_b32 s19, 0x3cfc8d9c
	v_fma_f64 v[8:9], v[4:5], v[6:7], -v[8:9]
	v_add_f64 v[8:9], v[8:9], s[18:19]
	s_mov_b32 s18, 0xbb056fc2
	s_mov_b32 s19, 0xbd19145e
	v_fma_f64 v[6:7], v[4:5], v[8:9], -v[6:7]
	v_add_f64 v[6:7], v[6:7], s[18:19]
	s_mov_b32 s18, 0xcd94cfe2
	s_mov_b32 s19, 0x3d369c4e
	v_fma_f64 v[8:9], v[4:5], v[6:7], -v[8:9]
	v_add_f64 v[8:9], v[8:9], s[18:19]
	s_mov_b32 s18, 0x21a470d1
	s_mov_b32 s19, 0xbd54f877
	v_fma_f64 v[6:7], v[4:5], v[8:9], -v[6:7]
	v_add_f64 v[6:7], v[6:7], s[18:19]
	s_mov_b32 s18, 0x2fccfc25
	s_mov_b32 s19, 0x3d740fa3
	v_fma_f64 v[8:9], v[4:5], v[6:7], -v[8:9]
	v_add_f64 v[8:9], v[8:9], s[18:19]
	s_mov_b32 s18, 0x3f005143
	s_mov_b32 s19, 0xbd93dafc
	v_fma_f64 v[6:7], v[4:5], v[8:9], -v[6:7]
	v_add_f64 v[6:7], v[6:7], s[18:19]
	s_mov_b32 s18, 0x475fbcc7
	s_mov_b32 s19, 0x3db46808
	v_fma_f64 v[8:9], v[4:5], v[6:7], -v[8:9]
	v_add_f64 v[8:9], v[8:9], s[18:19]
	s_mov_b32 s18, 0xd2e7c935
	s_mov_b32 s19, 0xbdd5df95
	v_fma_f64 v[6:7], v[4:5], v[8:9], -v[6:7]
	v_add_f64 v[6:7], v[6:7], s[18:19]
	s_mov_b32 s18, 0x819ff608
	s_mov_b32 s19, 0x3df8956c
	v_fma_f64 v[8:9], v[4:5], v[6:7], -v[8:9]
	v_add_f64 v[8:9], v[8:9], s[18:19]
	s_mov_b32 s18, 0xf22bf5db
	s_mov_b32 s19, 0xbe1d29d5
	v_fma_f64 v[6:7], v[4:5], v[8:9], -v[6:7]
	v_add_f64 v[6:7], v[6:7], s[18:19]
	s_mov_b32 s18, 0x33f428e
	s_mov_b32 s19, 0x3e4269a0
	v_fma_f64 v[8:9], v[4:5], v[6:7], -v[8:9]
	v_add_f64 v[8:9], v[8:9], s[18:19]
	s_mov_b32 s18, 0x1b54f2af
	s_mov_b32 s19, 0xbe690554
	v_fma_f64 v[6:7], v[4:5], v[8:9], -v[6:7]
	v_add_f64 v[6:7], v[6:7], s[18:19]
	s_mov_b32 s18, 0x81e3e46f
	s_mov_b32 s19, 0x3e929159
	v_fma_f64 v[8:9], v[4:5], v[6:7], -v[8:9]
	v_add_f64 v[8:9], v[8:9], s[18:19]
	s_mov_b32 s18, 0x7f18d3a9
	s_mov_b32 s19, 0xbebebb54
	v_fma_f64 v[6:7], v[4:5], v[8:9], -v[6:7]
	v_add_f64 v[6:7], v[6:7], s[18:19]
	s_mov_b32 s18, 0
	s_brev_b32 s19, 8
	v_cmp_gt_f64_e32 vcc, s[18:19], v[2:3]
	s_mov_b32 s18, 0xcc7470a9
	s_mov_b32 s19, 0x3eed413f
	v_fma_f64 v[8:9], v[4:5], v[6:7], -v[8:9]
	v_cndmask_b32_e32 v10, 0, v10, vcc
	v_ldexp_f64 v[2:3], v[2:3], v10
	v_add_f64 v[8:9], v[8:9], s[18:19]
	s_mov_b32 s18, 0xe7889f42
	s_mov_b32 s19, 0xbf20d797
	v_rsq_f64_e32 v[10:11], v[2:3]
	v_fma_f64 v[6:7], v[4:5], v[8:9], -v[6:7]
	v_add_f64 v[6:7], v[6:7], s[18:19]
	s_mov_b32 s18, 0xfca79342
	s_mov_b32 s19, 0x3f59b891
	v_mul_f64 v[12:13], v[2:3], v[10:11]
	v_mul_f64 v[10:11], v[10:11], 0.5
	v_fma_f64 v[8:9], v[4:5], v[6:7], -v[8:9]
	v_fma_f64 v[15:16], -v[10:11], v[12:13], 0.5
	v_add_f64 v[8:9], v[8:9], s[18:19]
	s_mov_b32 s18, 0x2d4ff71e
	s_mov_b32 s19, 0xbfa019f7
	v_fma_f64 v[12:13], v[12:13], v[15:16], v[12:13]
	v_fma_f64 v[10:11], v[10:11], v[15:16], v[10:11]
	v_fma_f64 v[6:7], v[4:5], v[8:9], -v[6:7]
	v_fma_f64 v[15:16], -v[12:13], v[12:13], v[2:3]
	v_add_f64 v[6:7], v[6:7], s[18:19]
	s_mov_b32 s18, 0x9f4e6907
	s_mov_b32 s19, 0x400385bd
	v_fma_f64 v[12:13], v[15:16], v[10:11], v[12:13]
	v_fma_f64 v[4:5], v[4:5], v[6:7], -v[8:9]
	v_fma_f64 v[6:7], -v[12:13], v[12:13], v[2:3]
	v_add_f64 v[4:5], v[4:5], s[18:19]
	v_fma_f64 v[6:7], v[6:7], v[10:11], v[12:13]
	v_add_f64 v[4:5], v[4:5], -v[8:9]
	v_mov_b32_e32 v8, 0xffffff80
	v_mov_b32_e32 v9, 0x260
	v_cndmask_b32_e32 v8, 0, v8, vcc
	v_cmp_class_f64_e32 vcc, v[2:3], v9
	v_ldexp_f64 v[6:7], v[6:7], v8
	v_mul_f64 v[4:5], v[4:5], 0.5
	v_cndmask_b32_e32 v3, v7, v3, vcc
	v_cndmask_b32_e32 v2, v6, v2, vcc
	v_div_scale_f64 v[6:7], s[18:19], v[2:3], v[2:3], v[4:5]
	v_div_scale_f64 v[12:13], vcc, v[4:5], v[2:3], v[4:5]
	v_rcp_f64_e32 v[8:9], v[6:7]
	v_fma_f64 v[10:11], -v[6:7], v[8:9], 1.0
	v_fma_f64 v[8:9], v[8:9], v[10:11], v[8:9]
	v_fma_f64 v[10:11], -v[6:7], v[8:9], 1.0
	v_fma_f64 v[8:9], v[8:9], v[10:11], v[8:9]
	v_mul_f64 v[10:11], v[12:13], v[8:9]
	v_fma_f64 v[6:7], -v[6:7], v[10:11], v[12:13]
	v_div_fmas_f64 v[6:7], v[6:7], v[8:9], v[10:11]
	v_div_fixup_f64 v[4:5], v[6:7], v[2:3], v[4:5]
.LBB8_1327:
	s_or_b64 exec, exec, s[0:1]
.LBB8_1328:
	s_or_b64 exec, exec, s[16:17]
.LBB8_1329:
	s_or_b64 exec, exec, s[12:13]
	v_add_u32_e32 v20, s3, v14
	v_ashrrev_i32_e32 v2, 31, v20
	v_mov_b32_e32 v3, s11
	v_add_co_u32_e32 v6, vcc, s10, v20
	s_cmp_lt_i32 s38, 11
	v_addc_co_u32_e32 v7, vcc, v3, v2, vcc
	s_cbranch_scc1 .LBB8_1336
; %bb.1330:
	s_cmp_gt_i32 s38, 25
	s_mov_b64 s[12:13], 0
	s_cbranch_scc0 .LBB8_1338
; %bb.1331:
	s_cmp_gt_i32 s38, 28
	s_cbranch_scc0 .LBB8_1339
; %bb.1332:
	s_cmp_gt_i32 s38, 43
	;; [unrolled: 3-line block ×3, first 2 shown]
	s_cbranch_scc0 .LBB8_1342
; %bb.1334:
	s_cmp_eq_u32 s38, 46
	s_mov_b64 s[18:19], 0
	s_cbranch_scc0 .LBB8_1343
; %bb.1335:
	global_load_dword v2, v[6:7], off
	s_mov_b64 s[0:1], 0
	s_mov_b64 s[16:17], -1
	s_waitcnt vmcnt(0)
	v_lshlrev_b32_e32 v2, 16, v2
	v_cvt_f64_f32_e32 v[2:3], v2
	s_branch .LBB8_1344
.LBB8_1336:
	s_mov_b64 s[16:17], 0
                                        ; implicit-def: $vgpr2_vgpr3
	s_cbranch_execnz .LBB8_1410
.LBB8_1337:
	s_andn2_b64 vcc, exec, s[16:17]
	s_cbranch_vccnz .LBB8_1682
	s_branch .LBB8_1458
.LBB8_1338:
	s_mov_b64 s[18:19], -1
	s_mov_b64 s[16:17], 0
	s_mov_b64 s[0:1], 0
                                        ; implicit-def: $vgpr2_vgpr3
	s_branch .LBB8_1375
.LBB8_1339:
	s_mov_b64 s[18:19], -1
	s_mov_b64 s[16:17], 0
	s_mov_b64 s[0:1], 0
                                        ; implicit-def: $vgpr2_vgpr3
	s_branch .LBB8_1354
.LBB8_1340:
	s_mov_b64 s[18:19], -1
	s_mov_b64 s[16:17], 0
	s_mov_b64 s[0:1], 0
                                        ; implicit-def: $vgpr2_vgpr3
	s_branch .LBB8_1349
.LBB8_1341:
	s_trap 2
	s_or_b64 s[14:15], s[14:15], exec
	s_cbranch_execz .LBB8_1272
	s_branch .LBB8_1273
.LBB8_1342:
	s_mov_b64 s[18:19], -1
	s_mov_b64 s[16:17], 0
	s_mov_b64 s[0:1], 0
                                        ; implicit-def: $vgpr2_vgpr3
	s_branch .LBB8_1344
.LBB8_1343:
	s_mov_b64 s[0:1], -1
                                        ; implicit-def: $vgpr2_vgpr3
	s_mov_b64 s[16:17], 0
.LBB8_1344:
	s_and_b64 vcc, exec, s[18:19]
	s_cbranch_vccz .LBB8_1348
; %bb.1345:
	s_cmp_eq_u32 s38, 44
	s_cbranch_scc0 .LBB8_1347
; %bb.1346:
	global_load_ubyte v8, v[6:7], off
	s_movk_i32 s16, 0xff
	v_bfrev_b32_e32 v9, 4
	v_mov_b32_e32 v10, 0x7ff80000
	v_bfrev_b32_e32 v11, 28
	s_mov_b64 s[0:1], 0
	s_waitcnt vmcnt(0)
	v_lshlrev_b32_e32 v2, 23, v8
	v_cvt_f64_f32_e32 v[2:3], v2
	v_cmp_ne_u32_e32 vcc, s16, v8
	s_mov_b64 s[16:17], -1
	v_cndmask_b32_e32 v2, v9, v2, vcc
	v_cndmask_b32_e32 v3, v10, v3, vcc
	v_cmp_ne_u32_e32 vcc, 0, v8
	v_cndmask_b32_e32 v3, v11, v3, vcc
	v_cndmask_b32_e32 v2, 0, v2, vcc
	s_branch .LBB8_1348
.LBB8_1347:
	s_mov_b64 s[0:1], -1
                                        ; implicit-def: $vgpr2_vgpr3
.LBB8_1348:
	s_mov_b64 s[18:19], 0
.LBB8_1349:
	s_and_b64 vcc, exec, s[18:19]
	s_cbranch_vccz .LBB8_1353
; %bb.1350:
	s_cmp_eq_u32 s38, 29
	s_cbranch_scc0 .LBB8_1352
; %bb.1351:
	global_load_dwordx2 v[2:3], v[6:7], off
	s_mov_b64 s[0:1], 0
	s_mov_b64 s[16:17], -1
	s_mov_b64 s[18:19], 0
	s_waitcnt vmcnt(0)
	v_cvt_f64_u32_e32 v[8:9], v3
	v_cvt_f64_u32_e32 v[2:3], v2
	v_ldexp_f64 v[8:9], v[8:9], 32
	v_add_f64 v[2:3], v[8:9], v[2:3]
	s_branch .LBB8_1354
.LBB8_1352:
	s_mov_b64 s[0:1], -1
                                        ; implicit-def: $vgpr2_vgpr3
.LBB8_1353:
	s_mov_b64 s[18:19], 0
.LBB8_1354:
	s_and_b64 vcc, exec, s[18:19]
	s_cbranch_vccz .LBB8_1374
; %bb.1355:
	s_cmp_lt_i32 s38, 27
	s_cbranch_scc1 .LBB8_1358
; %bb.1356:
	s_cmp_gt_i32 s38, 27
	s_cbranch_scc0 .LBB8_1359
; %bb.1357:
	global_load_dword v2, v[6:7], off
	s_mov_b64 s[16:17], 0
	s_waitcnt vmcnt(0)
	v_cvt_f64_u32_e32 v[2:3], v2
	s_branch .LBB8_1360
.LBB8_1358:
	s_mov_b64 s[16:17], -1
                                        ; implicit-def: $vgpr2_vgpr3
	s_branch .LBB8_1363
.LBB8_1359:
	s_mov_b64 s[16:17], -1
                                        ; implicit-def: $vgpr2_vgpr3
.LBB8_1360:
	s_andn2_b64 vcc, exec, s[16:17]
	s_cbranch_vccnz .LBB8_1362
; %bb.1361:
	global_load_ushort v2, v[6:7], off
	s_waitcnt vmcnt(0)
	v_cvt_f64_u32_e32 v[2:3], v2
.LBB8_1362:
	s_mov_b64 s[16:17], 0
.LBB8_1363:
	s_andn2_b64 vcc, exec, s[16:17]
	s_cbranch_vccnz .LBB8_1373
; %bb.1364:
	global_load_ubyte v8, v[6:7], off
	s_movk_i32 s16, 0x7f
	s_waitcnt vmcnt(0)
	v_cmp_lt_i16_e32 vcc, s16, v8
	s_mov_b64 s[16:17], 0
	s_and_saveexec_b64 s[18:19], vcc
	s_xor_b64 s[18:19], exec, s[18:19]
	s_cbranch_execz .LBB8_1368
; %bb.1365:
	s_movk_i32 s16, 0x80
	v_cmp_eq_u16_e32 vcc, s16, v8
	s_mov_b64 s[16:17], -1
	s_and_saveexec_b64 s[20:21], vcc
; %bb.1366:
	s_xor_b64 s[16:17], exec, -1
; %bb.1367:
	s_or_b64 exec, exec, s[20:21]
	s_and_b64 s[16:17], s[16:17], exec
.LBB8_1368:
	s_or_saveexec_b64 s[18:19], s[18:19]
	v_bfrev_b32_e32 v2, 4
	v_mov_b32_e32 v3, 0x7ff80000
	s_xor_b64 exec, exec, s[18:19]
; %bb.1369:
	v_cmp_ne_u16_e32 vcc, 0, v8
	v_mov_b32_e32 v2, 0
	s_andn2_b64 s[16:17], s[16:17], exec
	s_and_b64 s[20:21], vcc, exec
	v_mov_b32_e32 v3, 0
	s_or_b64 s[16:17], s[16:17], s[20:21]
; %bb.1370:
	s_or_b64 exec, exec, s[18:19]
	s_and_saveexec_b64 s[18:19], s[16:17]
	s_cbranch_execz .LBB8_1372
; %bb.1371:
	v_and_b32_e32 v3, 0xffff, v8
	v_lshlrev_b32_e32 v2, 24, v8
	v_and_b32_e32 v8, 7, v3
	v_ffbh_u32_e32 v10, v8
	v_min_u32_e32 v10, 32, v10
	v_subrev_u32_e32 v11, 28, v10
	v_bfe_u32 v9, v3, 3, 4
	v_lshlrev_b32_e32 v3, v11, v3
	v_sub_u32_e32 v10, 29, v10
	v_and_b32_e32 v3, 7, v3
	v_cmp_eq_u32_e32 vcc, 0, v9
	v_cndmask_b32_e32 v9, v9, v10, vcc
	v_cndmask_b32_e32 v3, v8, v3, vcc
	v_mov_b32_e32 v8, 0x3b800000
	v_lshlrev_b32_e32 v3, 20, v3
	v_and_b32_e32 v2, 0x80000000, v2
	v_lshl_add_u32 v8, v9, 23, v8
	v_or3_b32 v2, v2, v8, v3
	v_cvt_f64_f32_e32 v[2:3], v2
.LBB8_1372:
	s_or_b64 exec, exec, s[18:19]
.LBB8_1373:
	s_mov_b64 s[16:17], -1
.LBB8_1374:
	s_mov_b64 s[18:19], 0
.LBB8_1375:
	s_and_b64 vcc, exec, s[18:19]
	s_cbranch_vccz .LBB8_1406
; %bb.1376:
	s_cmp_gt_i32 s38, 22
	s_cbranch_scc0 .LBB8_1388
; %bb.1377:
	s_cmp_lt_i32 s38, 24
	s_cbranch_scc1 .LBB8_1389
; %bb.1378:
	s_cmp_gt_i32 s38, 24
	s_cbranch_scc0 .LBB8_1390
; %bb.1379:
	global_load_ubyte v8, v[6:7], off
	s_movk_i32 s12, 0x7f
	s_waitcnt vmcnt(0)
	v_cmp_lt_i16_e32 vcc, s12, v8
	s_mov_b64 s[12:13], 0
	s_and_saveexec_b64 s[16:17], vcc
	s_xor_b64 s[16:17], exec, s[16:17]
	s_cbranch_execz .LBB8_1383
; %bb.1380:
	s_movk_i32 s12, 0x80
	v_cmp_eq_u16_e32 vcc, s12, v8
	s_mov_b64 s[12:13], -1
	s_and_saveexec_b64 s[18:19], vcc
; %bb.1381:
	s_xor_b64 s[12:13], exec, -1
; %bb.1382:
	s_or_b64 exec, exec, s[18:19]
	s_and_b64 s[12:13], s[12:13], exec
.LBB8_1383:
	s_or_saveexec_b64 s[16:17], s[16:17]
	v_bfrev_b32_e32 v2, 4
	v_mov_b32_e32 v3, 0x7ff80000
	s_xor_b64 exec, exec, s[16:17]
; %bb.1384:
	v_cmp_ne_u16_e32 vcc, 0, v8
	v_mov_b32_e32 v2, 0
	s_andn2_b64 s[12:13], s[12:13], exec
	s_and_b64 s[18:19], vcc, exec
	v_mov_b32_e32 v3, 0
	s_or_b64 s[12:13], s[12:13], s[18:19]
; %bb.1385:
	s_or_b64 exec, exec, s[16:17]
	s_and_saveexec_b64 s[16:17], s[12:13]
	s_cbranch_execz .LBB8_1387
; %bb.1386:
	v_and_b32_e32 v3, 0xffff, v8
	v_lshlrev_b32_e32 v2, 24, v8
	v_and_b32_e32 v8, 3, v3
	v_ffbh_u32_e32 v10, v8
	v_min_u32_e32 v10, 32, v10
	v_subrev_u32_e32 v11, 29, v10
	v_bfe_u32 v9, v3, 2, 5
	v_lshlrev_b32_e32 v3, v11, v3
	v_sub_u32_e32 v10, 30, v10
	v_and_b32_e32 v3, 3, v3
	v_cmp_eq_u32_e32 vcc, 0, v9
	v_cndmask_b32_e32 v9, v9, v10, vcc
	v_cndmask_b32_e32 v3, v8, v3, vcc
	v_mov_b32_e32 v8, 0x37800000
	v_lshlrev_b32_e32 v3, 21, v3
	v_and_b32_e32 v2, 0x80000000, v2
	v_lshl_add_u32 v8, v9, 23, v8
	v_or3_b32 v2, v2, v8, v3
	v_cvt_f64_f32_e32 v[2:3], v2
.LBB8_1387:
	s_or_b64 exec, exec, s[16:17]
	s_mov_b64 s[12:13], 0
	s_branch .LBB8_1391
.LBB8_1388:
	s_mov_b64 s[12:13], -1
                                        ; implicit-def: $vgpr2_vgpr3
	s_branch .LBB8_1397
.LBB8_1389:
	s_mov_b64 s[12:13], -1
                                        ; implicit-def: $vgpr2_vgpr3
	s_branch .LBB8_1394
.LBB8_1390:
	s_mov_b64 s[12:13], -1
                                        ; implicit-def: $vgpr2_vgpr3
.LBB8_1391:
	s_and_b64 vcc, exec, s[12:13]
	s_cbranch_vccz .LBB8_1393
; %bb.1392:
	global_load_ubyte v2, v[6:7], off
	s_mov_b32 s12, 0x7f800000
	s_waitcnt vmcnt(0)
	v_lshlrev_b32_e32 v2, 24, v2
	v_and_b32_e32 v3, 0x7f000000, v2
	v_ffbh_u32_e32 v8, v3
	v_min_u32_e32 v8, 32, v8
	v_sub_u32_e64 v8, v8, 4 clamp
	v_lshlrev_b32_e32 v10, v8, v3
	v_lshlrev_b32_e32 v8, 23, v8
	v_lshrrev_b32_e32 v10, 4, v10
	v_add_u32_e32 v9, 0x1000000, v3
	v_sub_u32_e32 v8, v10, v8
	v_ashrrev_i32_e32 v9, 8, v9
	v_add_u32_e32 v8, 0x3c000000, v8
	v_and_or_b32 v8, v9, s12, v8
	v_cmp_ne_u32_e32 vcc, 0, v3
	v_cndmask_b32_e32 v3, 0, v8, vcc
	s_brev_b32 s12, 1
	v_and_or_b32 v2, v2, s12, v3
	v_cvt_f64_f32_e32 v[2:3], v2
.LBB8_1393:
	s_mov_b64 s[12:13], 0
.LBB8_1394:
	s_andn2_b64 vcc, exec, s[12:13]
	s_cbranch_vccnz .LBB8_1396
; %bb.1395:
	global_load_ubyte v2, v[6:7], off
	s_movk_i32 s12, 0x7f00
	s_brev_b32 s13, 16
	s_waitcnt vmcnt(0)
	v_lshlrev_b16_e32 v3, 8, v2
	v_lshlrev_b32_e32 v2, 25, v2
	v_lshrrev_b32_e32 v8, 4, v2
	v_and_or_b32 v9, v3, s12, 0.5
	v_or_b32_e32 v8, 0x70000000, v8
	v_add_f32_e32 v9, -0.5, v9
	v_mul_f32_e32 v8, 0x7800000, v8
	v_cmp_gt_u32_e32 vcc, s13, v2
	v_bfe_i32 v3, v3, 0, 16
	v_cndmask_b32_e32 v2, v8, v9, vcc
	s_brev_b32 s12, 1
	v_and_or_b32 v2, v3, s12, v2
	v_cvt_f64_f32_e32 v[2:3], v2
.LBB8_1396:
	s_mov_b64 s[12:13], 0
	s_mov_b64 s[16:17], -1
.LBB8_1397:
	s_andn2_b64 vcc, exec, s[12:13]
	s_mov_b64 s[12:13], 0
	s_cbranch_vccnz .LBB8_1406
; %bb.1398:
	s_cmp_gt_i32 s38, 14
	s_cbranch_scc0 .LBB8_1401
; %bb.1399:
	s_cmp_eq_u32 s38, 15
	s_cbranch_scc0 .LBB8_1402
; %bb.1400:
	global_load_ushort v2, v[6:7], off
	s_mov_b64 s[0:1], 0
	s_mov_b64 s[16:17], -1
	s_waitcnt vmcnt(0)
	v_lshlrev_b32_e32 v2, 16, v2
	v_cvt_f64_f32_e32 v[2:3], v2
	s_branch .LBB8_1403
.LBB8_1401:
	s_mov_b64 s[18:19], -1
                                        ; implicit-def: $vgpr2_vgpr3
	s_branch .LBB8_1404
.LBB8_1402:
	s_mov_b64 s[0:1], -1
                                        ; implicit-def: $vgpr2_vgpr3
.LBB8_1403:
	s_mov_b64 s[18:19], 0
.LBB8_1404:
	s_and_b64 vcc, exec, s[18:19]
	s_cbranch_vccz .LBB8_1406
; %bb.1405:
	s_cmp_lg_u32 s38, 11
	s_mov_b64 s[12:13], -1
	s_cselect_b64 s[0:1], -1, 0
.LBB8_1406:
	s_and_b64 vcc, exec, s[0:1]
	s_cbranch_vccnz .LBB8_1477
; %bb.1407:
	s_andn2_b64 vcc, exec, s[12:13]
	s_cbranch_vccnz .LBB8_1409
.LBB8_1408:
	global_load_ubyte v3, v[6:7], off
	v_mov_b32_e32 v8, 0x3ff00000
	v_mov_b32_e32 v2, 0
	s_mov_b64 s[16:17], -1
	s_waitcnt vmcnt(0)
	v_cmp_ne_u16_e32 vcc, 0, v3
	v_cndmask_b32_e32 v3, 0, v8, vcc
.LBB8_1409:
	s_branch .LBB8_1337
.LBB8_1410:
	s_cmp_lt_i32 s38, 5
	s_cbranch_scc1 .LBB8_1415
; %bb.1411:
	s_cmp_lt_i32 s38, 8
	s_cbranch_scc1 .LBB8_1416
; %bb.1412:
	s_cmp_lt_i32 s38, 9
	s_cbranch_scc1 .LBB8_1417
; %bb.1413:
	s_cmp_gt_i32 s38, 9
	s_cbranch_scc0 .LBB8_1418
; %bb.1414:
	global_load_dwordx2 v[2:3], v[6:7], off
	s_mov_b64 s[0:1], 0
	s_branch .LBB8_1419
.LBB8_1415:
	s_mov_b64 s[0:1], -1
                                        ; implicit-def: $vgpr2_vgpr3
	s_branch .LBB8_1437
.LBB8_1416:
	s_mov_b64 s[0:1], -1
                                        ; implicit-def: $vgpr2_vgpr3
	s_branch .LBB8_1425
.LBB8_1417:
	s_mov_b64 s[0:1], -1
                                        ; implicit-def: $vgpr2_vgpr3
	s_branch .LBB8_1422
.LBB8_1418:
	s_mov_b64 s[0:1], -1
                                        ; implicit-def: $vgpr2_vgpr3
.LBB8_1419:
	s_andn2_b64 vcc, exec, s[0:1]
	s_cbranch_vccnz .LBB8_1421
; %bb.1420:
	global_load_dword v2, v[6:7], off
	s_waitcnt vmcnt(0)
	v_cvt_f64_f32_e32 v[2:3], v2
.LBB8_1421:
	s_mov_b64 s[0:1], 0
.LBB8_1422:
	s_andn2_b64 vcc, exec, s[0:1]
	s_cbranch_vccnz .LBB8_1424
; %bb.1423:
	global_load_dword v2, v[6:7], off
	s_waitcnt vmcnt(0)
	v_cvt_f32_f16_e32 v2, v2
	v_cvt_f64_f32_e32 v[2:3], v2
.LBB8_1424:
	s_mov_b64 s[0:1], 0
.LBB8_1425:
	s_andn2_b64 vcc, exec, s[0:1]
	s_cbranch_vccnz .LBB8_1436
; %bb.1426:
	s_cmp_lt_i32 s38, 6
	s_cbranch_scc1 .LBB8_1429
; %bb.1427:
	s_cmp_gt_i32 s38, 6
	s_cbranch_scc0 .LBB8_1430
; %bb.1428:
	global_load_dwordx2 v[2:3], v[6:7], off
	s_mov_b64 s[0:1], 0
	s_branch .LBB8_1431
.LBB8_1429:
	s_mov_b64 s[0:1], -1
                                        ; implicit-def: $vgpr2_vgpr3
	s_branch .LBB8_1434
.LBB8_1430:
	s_mov_b64 s[0:1], -1
                                        ; implicit-def: $vgpr2_vgpr3
.LBB8_1431:
	s_andn2_b64 vcc, exec, s[0:1]
	s_cbranch_vccnz .LBB8_1433
; %bb.1432:
	global_load_dword v2, v[6:7], off
	s_waitcnt vmcnt(0)
	v_cvt_f64_f32_e32 v[2:3], v2
.LBB8_1433:
	s_mov_b64 s[0:1], 0
.LBB8_1434:
	s_andn2_b64 vcc, exec, s[0:1]
	s_cbranch_vccnz .LBB8_1436
; %bb.1435:
	global_load_ushort v2, v[6:7], off
	s_waitcnt vmcnt(0)
	v_cvt_f32_f16_e32 v2, v2
	v_cvt_f64_f32_e32 v[2:3], v2
.LBB8_1436:
	s_mov_b64 s[0:1], 0
.LBB8_1437:
	s_andn2_b64 vcc, exec, s[0:1]
	s_cbranch_vccnz .LBB8_1457
; %bb.1438:
	s_cmp_lt_i32 s38, 2
	s_cbranch_scc1 .LBB8_1442
; %bb.1439:
	s_cmp_lt_i32 s38, 3
	s_cbranch_scc1 .LBB8_1443
; %bb.1440:
	s_cmp_gt_i32 s38, 3
	s_cbranch_scc0 .LBB8_1444
; %bb.1441:
	global_load_dwordx2 v[2:3], v[6:7], off
	s_mov_b64 s[0:1], 0
	s_waitcnt vmcnt(0)
	v_cvt_f64_i32_e32 v[8:9], v3
	v_cvt_f64_u32_e32 v[2:3], v2
	v_ldexp_f64 v[8:9], v[8:9], 32
	v_add_f64 v[2:3], v[8:9], v[2:3]
	s_branch .LBB8_1445
.LBB8_1442:
	s_mov_b64 s[0:1], -1
                                        ; implicit-def: $vgpr2_vgpr3
	s_branch .LBB8_1451
.LBB8_1443:
	s_mov_b64 s[0:1], -1
                                        ; implicit-def: $vgpr2_vgpr3
	s_branch .LBB8_1448
.LBB8_1444:
	s_mov_b64 s[0:1], -1
                                        ; implicit-def: $vgpr2_vgpr3
.LBB8_1445:
	s_andn2_b64 vcc, exec, s[0:1]
	s_cbranch_vccnz .LBB8_1447
; %bb.1446:
	global_load_dword v2, v[6:7], off
	s_waitcnt vmcnt(0)
	v_cvt_f64_i32_e32 v[2:3], v2
.LBB8_1447:
	s_mov_b64 s[0:1], 0
.LBB8_1448:
	s_andn2_b64 vcc, exec, s[0:1]
	s_cbranch_vccnz .LBB8_1450
; %bb.1449:
	global_load_sshort v2, v[6:7], off
	s_waitcnt vmcnt(0)
	v_cvt_f64_i32_e32 v[2:3], v2
.LBB8_1450:
	s_mov_b64 s[0:1], 0
.LBB8_1451:
	s_andn2_b64 vcc, exec, s[0:1]
	s_cbranch_vccnz .LBB8_1457
; %bb.1452:
	s_cmp_gt_i32 s38, 0
	s_cbranch_scc0 .LBB8_1454
; %bb.1453:
	global_load_sbyte v2, v[6:7], off
	s_mov_b64 s[0:1], 0
	s_waitcnt vmcnt(0)
	v_cvt_f64_i32_e32 v[2:3], v2
	s_branch .LBB8_1455
.LBB8_1454:
	s_mov_b64 s[0:1], -1
                                        ; implicit-def: $vgpr2_vgpr3
.LBB8_1455:
	s_andn2_b64 vcc, exec, s[0:1]
	s_cbranch_vccnz .LBB8_1457
; %bb.1456:
	global_load_ubyte v2, v[6:7], off
	s_waitcnt vmcnt(0)
	v_cvt_f64_u32_e32 v[2:3], v2
.LBB8_1457:
.LBB8_1458:
	s_waitcnt vmcnt(0)
	v_cmp_neq_f64_e32 vcc, 0, v[2:3]
	v_mov_b32_e32 v8, 0
	v_mov_b32_e32 v9, 0x7ff00000
	s_and_saveexec_b64 s[12:13], vcc
	s_cbranch_execz .LBB8_1466
; %bb.1459:
	v_cmp_ngt_f64_e32 vcc, 0, v[2:3]
	v_mov_b32_e32 v8, 0
	v_mov_b32_e32 v9, 0x7ff80000
	s_and_saveexec_b64 s[16:17], vcc
	s_cbranch_execz .LBB8_1465
; %bb.1460:
	v_cmp_ge_f64_e32 vcc, 2.0, v[2:3]
                                        ; implicit-def: $vgpr8_vgpr9
	s_and_saveexec_b64 s[0:1], vcc
	s_xor_b64 s[18:19], exec, s[0:1]
	s_cbranch_execz .LBB8_1462
; %bb.1461:
	v_fma_f64 v[6:7], v[2:3], 0.5, -2.0
	v_mov_b32_e32 v8, 0x977da589
	v_mov_b32_e32 v9, 0x3c833362
	s_mov_b32 s1, 0xbc545cb7
	s_mov_b32 s0, 0x2134d0ef
	s_mov_b32 s20, 0x7a946abc
	s_mov_b32 s21, 0xbdb2fc95
	s_mov_b32 s22, 0x59c41d5a
	v_fma_f64 v[8:9], v[6:7], s[0:1], v[8:9]
	s_mov_b32 s1, 0x3c545cb7
	s_mov_b32 s23, 0xbf0e2b26
	;; [unrolled: 1-line block ×7, first 2 shown]
	v_fma_f64 v[10:11], v[6:7], v[8:9], s[0:1]
	s_mov_b32 s0, 0x721ebbb4
	s_mov_b32 s1, 0xbcb184eb
	;; [unrolled: 1-line block ×7, first 2 shown]
	v_add_f64 v[10:11], v[10:11], s[0:1]
	s_mov_b32 s0, 0x93f65eba
	s_mov_b32 s1, 0x3cdee6d8
	s_mov_b32 s42, 0x8a12100e
	s_mov_b32 s43, 0x3f5adc75
	s_mov_b32 s36, 0x201aa849
	s_mov_b32 s37, 0xbf71b65e
	s_mov_b32 s44, 0x652b82fe
	v_fma_f64 v[8:9], v[6:7], v[10:11], -v[8:9]
	s_mov_b32 s45, 0x3ff71547
	s_mov_b32 s34, 0xf3dde3dd
	;; [unrolled: 1-line block ×5, first 2 shown]
	v_mov_b32_e32 v39, 0xfca7ab0c
	v_mov_b32_e32 v40, 0x3e928af3
	v_add_f64 v[8:9], v[8:9], s[0:1]
	s_mov_b32 s0, 0xc297fbeb
	s_mov_b32 s1, 0xbd0a5022
	v_fma_f64 v[10:11], v[6:7], v[8:9], -v[10:11]
	v_add_f64 v[10:11], v[10:11], s[0:1]
	s_mov_b32 s0, 0x4b262627
	s_mov_b32 s1, 0x3d359b46
	v_fma_f64 v[8:9], v[6:7], v[10:11], -v[8:9]
	;; [unrolled: 4-line block ×4, first 2 shown]
	v_add_f64 v[12:13], v[8:9], s[0:1]
	v_mul_f64 v[8:9], v[2:3], 0.5
	s_mov_b32 s1, 0x3fe55555
	s_mov_b32 s0, 0x55555555
	v_fma_f64 v[10:11], v[6:7], v[12:13], -v[10:11]
	v_frexp_mant_f64_e32 v[14:15], v[8:9]
	v_frexp_exp_i32_f64_e32 v25, v[8:9]
	v_add_f64 v[10:11], v[10:11], s[20:21]
	v_cmp_gt_f64_e32 vcc, s[0:1], v[14:15]
	s_mov_b32 s20, 0xcc743c10
	s_mov_b32 s21, 0x3dda98be
	;; [unrolled: 1-line block ×3, first 2 shown]
	v_fma_f64 v[12:13], v[6:7], v[10:11], -v[12:13]
	v_cndmask_b32_e64 v16, 0, 1, vcc
	v_ldexp_f64 v[14:15], v[14:15], v16
	v_subbrev_co_u32_e32 v25, vcc, 0, v25, vcc
	v_cvt_f64_i32_e32 v[35:36], v25
	v_add_f64 v[12:13], v[12:13], s[20:21]
	s_mov_b32 s20, 0x13ae9556
	v_add_f64 v[16:17], v[14:15], 1.0
	s_mov_b32 s21, 0xbe01d4fe
	v_add_f64 v[23:24], v[14:15], -1.0
	v_fma_f64 v[10:11], v[6:7], v[12:13], -v[10:11]
	v_rcp_f64_e32 v[18:19], v[16:17]
	v_add_f64 v[27:28], v[16:17], -1.0
	v_add_f64 v[10:11], v[10:11], s[20:21]
	s_mov_b32 s20, 0xa454cb34
	s_mov_b32 s21, 0x3e26d903
	v_add_f64 v[14:15], v[14:15], -v[27:28]
	v_fma_f64 v[12:13], v[6:7], v[10:11], -v[12:13]
	v_fma_f64 v[21:22], -v[16:17], v[18:19], 1.0
	v_add_f64 v[12:13], v[12:13], s[20:21]
	s_mov_b32 s20, 0x8c0b30ab
	v_fma_f64 v[18:19], v[21:22], v[18:19], v[18:19]
	s_mov_b32 s21, 0xbe4beaf6
	v_fma_f64 v[10:11], v[6:7], v[12:13], -v[10:11]
	v_fma_f64 v[21:22], -v[16:17], v[18:19], 1.0
	v_fma_f64 v[18:19], v[21:22], v[18:19], v[18:19]
	v_add_f64 v[21:22], v[10:11], s[20:21]
	s_mov_b32 s20, 0x9d4d6435
	s_mov_b32 s21, 0x3e703b76
	v_mul_f64 v[10:11], v[23:24], v[18:19]
	v_fma_f64 v[12:13], v[6:7], v[21:22], -v[12:13]
	v_mul_f64 v[29:30], v[16:17], v[10:11]
	v_add_f64 v[12:13], v[12:13], s[20:21]
	s_mov_b32 s20, 0x8f227f8d
	s_mov_b32 s21, 0xbe91ec63
	v_fma_f64 v[16:17], v[10:11], v[16:17], -v[29:30]
	v_fma_f64 v[21:22], v[6:7], v[12:13], -v[21:22]
	v_fma_f64 v[14:15], v[10:11], v[14:15], v[16:17]
	v_add_f64 v[16:17], v[21:22], s[20:21]
	s_mov_b32 s20, 0x978cf4ac
	s_mov_b32 s21, 0x3eb2bf24
	v_add_f64 v[21:22], v[29:30], v[14:15]
	v_fma_f64 v[12:13], v[6:7], v[16:17], -v[12:13]
	v_add_f64 v[27:28], v[23:24], -v[21:22]
	v_add_f64 v[12:13], v[12:13], s[20:21]
	v_add_f64 v[29:30], v[21:22], -v[29:30]
	s_mov_b32 s20, 0xcba56427
	s_mov_b32 s21, 0xbed2866f
	v_add_f64 v[23:24], v[23:24], -v[27:28]
	v_fma_f64 v[16:17], v[6:7], v[12:13], -v[16:17]
	v_add_f64 v[14:15], v[29:30], -v[14:15]
	v_mov_b32_e32 v29, 0xc384c2aa
	v_mov_b32_e32 v30, 0x3d27fb0a
	v_add_f64 v[21:22], v[23:24], -v[21:22]
	v_add_f64 v[16:17], v[16:17], s[20:21]
	s_mov_b32 s20, 0xbe9a2859
	s_mov_b32 s21, 0x3ef13f58
	v_add_f64 v[14:15], v[14:15], v[21:22]
	v_fma_f64 v[12:13], v[6:7], v[16:17], -v[12:13]
	v_mov_b32_e32 v21, 0x6b47b09a
	v_mov_b32_e32 v22, 0x3fc38538
	v_add_f64 v[14:15], v[27:28], v[14:15]
	v_add_f64 v[12:13], v[12:13], s[20:21]
	s_mov_b32 s20, 0xbf559e2b
	s_mov_b32 s21, 0x3fc3ab76
	v_mul_f64 v[14:15], v[18:19], v[14:15]
	v_fma_f64 v[18:19], v[6:7], v[12:13], -v[16:17]
	v_add_f64 v[16:17], v[10:11], v[14:15]
	v_add_f64 v[23:24], v[18:19], s[22:23]
	s_mov_b32 s22, 0x998ef7b6
	s_mov_b32 s23, 0x3fd99999
	v_mul_f64 v[18:19], v[16:17], v[16:17]
	v_fma_f64 v[12:13], v[6:7], v[23:24], -v[12:13]
	v_add_f64 v[10:11], v[16:17], -v[10:11]
	v_fma_f64 v[21:22], v[18:19], s[20:21], v[21:22]
	v_add_f64 v[27:28], v[12:13], s[30:31]
	v_mul_f64 v[31:32], v[16:17], v[18:19]
	s_mov_b32 s21, 0x3fe62e42
	s_mov_b32 s20, 0xfefa39ef
	v_mul_f64 v[37:38], v[35:36], s[20:21]
	v_add_f64 v[14:15], v[14:15], -v[10:11]
	s_mov_b32 s30, 0xf121b6f0
	v_fma_f64 v[12:13], v[18:19], v[21:22], s[24:25]
	v_fma_f64 v[21:22], v[6:7], v[27:28], -v[23:24]
	s_mov_b32 s25, 0x3c7abc9e
	s_mov_b32 s24, 0x3b39803f
	;; [unrolled: 1-line block ×3, first 2 shown]
	v_ldexp_f64 v[14:15], v[14:15], 1
	v_fma_f64 v[23:24], v[18:19], v[12:13], s[26:27]
	v_add_f64 v[21:22], v[21:22], s[40:41]
	v_fma_f64 v[12:13], v[2:3], v[2:3], -2.0
	s_mov_b32 s41, 0x3ca3cee1
	s_mov_b32 s40, 0xe6a7fd77
	;; [unrolled: 1-line block ×4, first 2 shown]
	v_fma_f64 v[23:24], v[18:19], v[23:24], s[28:29]
	v_fma_f64 v[27:28], v[6:7], v[21:22], -v[27:28]
	s_mov_b32 s28, 0x342d06ea
	s_mov_b32 s29, 0xbfb84b70
	v_fma_f64 v[23:24], v[18:19], v[23:24], s[22:23]
	v_add_f64 v[27:28], v[27:28], s[42:43]
	s_mov_b32 s42, 0x47512144
	s_mov_b32 s43, 0x3da6c25c
	;; [unrolled: 1-line block ×4, first 2 shown]
	v_fma_f64 v[18:19], v[18:19], v[23:24], s[0:1]
	v_fma_f64 v[21:22], v[6:7], v[27:28], -v[21:22]
	v_fma_f64 v[23:24], v[12:13], s[40:41], v[29:30]
	v_ldexp_f64 v[29:30], v[16:17], 1
	s_mov_b32 s41, 0xbca3cee1
	s_mov_b32 s0, 0xc057cd8d
	s_mov_b32 s1, 0xbfd37feb
	v_mul_f64 v[18:19], v[31:32], v[18:19]
	v_add_f64 v[21:22], v[21:22], s[36:37]
	v_mul_f64 v[31:32], v[2:3], s[44:45]
	v_fma_f64 v[33:34], v[12:13], v[23:24], s[40:41]
	v_add_f64 v[16:17], v[29:30], v[18:19]
	v_fma_f64 v[27:28], v[6:7], v[21:22], -v[27:28]
	v_rndne_f64_e32 v[10:11], v[31:32]
	v_add_f64 v[33:34], v[33:34], s[42:43]
	v_fma_f64 v[31:32], v[35:36], s[20:21], -v[37:38]
	s_mov_b32 s21, 0xbfe62e42
	v_add_f64 v[29:30], v[16:17], -v[29:30]
	v_add_f64 v[27:28], v[27:28], s[34:35]
	v_fma_f64 v[2:3], v[10:11], s[20:21], v[2:3]
	v_fma_f64 v[23:24], v[12:13], v[33:34], -v[23:24]
	s_mov_b32 s20, 0x6a5dcb37
	s_mov_b32 s21, 0x3e5ade15
	;; [unrolled: 1-line block ×4, first 2 shown]
	v_add_f64 v[18:19], v[18:19], -v[29:30]
	v_fma_f64 v[21:22], v[6:7], v[27:28], -v[21:22]
	v_fma_f64 v[29:30], v[35:36], s[24:25], v[31:32]
	s_mov_b32 s25, 0xbc7abc9e
	v_add_f64 v[23:24], v[23:24], s[46:47]
	v_fma_f64 v[2:3], v[10:11], s[24:25], v[2:3]
	s_mov_b32 s24, 0xe7f95efc
	s_mov_b32 s25, 0x3e9102bc
	v_add_f64 v[14:15], v[14:15], v[18:19]
	v_add_f64 v[18:19], v[21:22], s[30:31]
	;; [unrolled: 1-line block ×3, first 2 shown]
	s_mov_b32 s30, 0x623fde64
	v_fma_f64 v[33:34], v[12:13], v[23:24], -v[33:34]
	v_fma_f64 v[35:36], v[2:3], s[20:21], v[39:40]
	s_mov_b32 s31, 0x3ec71dee
	s_mov_b32 s20, 0x7c89e6b0
	v_add_f64 v[31:32], v[16:17], v[14:15]
	v_fma_f64 v[27:28], v[6:7], v[18:19], -v[27:28]
	s_mov_b32 s21, 0x3efa0199
	v_add_f64 v[37:38], v[21:22], -v[37:38]
	v_add_f64 v[33:34], v[33:34], s[24:25]
	v_fma_f64 v[35:36], v[2:3], v[35:36], s[30:31]
	s_mov_b32 s24, 0x14761f6e
	s_mov_b32 s25, 0x3f2a01a0
	v_add_f64 v[39:40], v[21:22], v[31:32]
	v_add_f64 v[27:28], v[27:28], s[26:27]
	v_add_f64 v[16:17], v[31:32], -v[16:17]
	v_add_f64 v[29:30], v[29:30], -v[37:38]
	v_fma_f64 v[23:24], v[12:13], v[33:34], -v[23:24]
	v_fma_f64 v[35:36], v[2:3], v[35:36], s[20:21]
	s_mov_b32 s20, 0x1852b7b0
	s_mov_b32 s21, 0x3f56c16c
	v_add_f64 v[41:42], v[39:40], -v[21:22]
	v_fma_f64 v[18:19], v[6:7], v[27:28], -v[18:19]
	v_add_f64 v[14:15], v[14:15], -v[16:17]
	s_mov_b32 s26, 0x555502a1
	v_add_f64 v[23:24], v[23:24], s[34:35]
	v_fma_f64 v[35:36], v[2:3], v[35:36], s[24:25]
	s_mov_b32 s24, 0x75633d73
	s_mov_b32 s25, 0x3f54b82e
	v_add_f64 v[37:38], v[39:40], -v[41:42]
	v_add_f64 v[18:19], v[18:19], s[28:29]
	v_add_f64 v[16:17], v[31:32], -v[41:42]
	s_mov_b32 s27, 0x3fa55555
	v_fma_f64 v[31:32], v[12:13], v[23:24], -v[33:34]
	v_fma_f64 v[33:34], v[2:3], v[35:36], s[20:21]
	s_mov_b32 s20, 0x11122322
	s_mov_b32 s21, 0x3f811111
	v_add_f64 v[21:22], v[21:22], -v[37:38]
	v_fma_f64 v[27:28], v[6:7], v[18:19], -v[27:28]
	v_add_f64 v[35:36], v[29:30], v[14:15]
	v_add_f64 v[16:17], v[16:17], v[21:22]
	;; [unrolled: 1-line block ×3, first 2 shown]
	v_fma_f64 v[31:32], v[2:3], v[33:34], s[20:21]
	v_add_f64 v[27:28], v[27:28], s[22:23]
	v_add_f64 v[33:34], v[35:36], -v[29:30]
	s_mov_b32 s20, 0x554a9085
	s_mov_b32 s22, 0x55555511
	;; [unrolled: 1-line block ×3, first 2 shown]
	v_add_f64 v[16:17], v[35:36], v[16:17]
	v_fma_f64 v[23:24], v[12:13], v[21:22], -v[23:24]
	v_fma_f64 v[31:32], v[2:3], v[31:32], s[26:27]
	v_fma_f64 v[18:19], v[6:7], v[27:28], -v[18:19]
	s_mov_b32 s23, 0x3fc55555
	v_add_f64 v[35:36], v[35:36], -v[33:34]
	s_mov_b32 s24, 11
	s_mov_b32 s25, 0x3fe00000
	v_add_f64 v[37:38], v[39:40], v[16:17]
	v_add_f64 v[23:24], v[23:24], s[20:21]
	v_fma_f64 v[31:32], v[2:3], v[31:32], s[22:23]
	v_add_f64 v[18:19], v[18:19], s[0:1]
	v_add_f64 v[14:15], v[14:15], -v[33:34]
	v_add_f64 v[29:30], v[29:30], -v[35:36]
	s_mov_b32 s0, 0x81213db9
	s_mov_b32 s20, 0x9035a22a
	v_add_f64 v[33:34], v[37:38], -v[39:40]
	v_fma_f64 v[21:22], v[12:13], v[23:24], -v[21:22]
	v_fma_f64 v[31:32], v[2:3], v[31:32], s[24:25]
	v_fma_f64 v[6:7], v[6:7], v[18:19], -v[27:28]
	s_mov_b32 s1, 0x3fd608d8
	s_mov_b32 s21, 0x3fe5a84e
	v_add_f64 v[14:15], v[14:15], v[29:30]
	v_add_f64 v[16:17], v[16:17], -v[33:34]
	v_add_f64 v[18:19], v[21:22], s[0:1]
	v_fma_f64 v[21:22], v[2:3], v[31:32], 1.0
	v_add_f64 v[6:7], v[6:7], s[20:21]
	s_mov_b32 s0, 0xe9d2f61f
	s_mov_b32 s1, 0xbfe12166
	v_add_f64 v[14:15], v[14:15], v[16:17]
	v_fma_f64 v[12:13], v[12:13], v[18:19], -v[23:24]
	v_fma_f64 v[2:3], v[2:3], v[21:22], 1.0
	v_add_f64 v[6:7], v[6:7], -v[27:28]
	v_cvt_i32_f64_e32 v16, v[10:11]
	v_add_f64 v[10:11], v[37:38], v[14:15]
	v_add_f64 v[12:13], v[12:13], s[0:1]
	v_ldexp_f64 v[2:3], v[2:3], v16
	v_mul_f64 v[6:7], v[6:7], 0.5
	s_mov_b32 s0, 0
	s_mov_b32 s1, 0x7ff00000
	v_cmp_neq_f64_e32 vcc, s[0:1], v[8:9]
	v_cmp_neq_f64_e64 s[0:1], 0, v[8:9]
	v_mov_b32_e32 v14, 0x7ff00000
	v_add_f64 v[8:9], v[12:13], -v[23:24]
	v_mul_f64 v[6:7], v[2:3], v[6:7]
	v_cndmask_b32_e32 v11, v14, v11, vcc
	v_mov_b32_e32 v14, 0xfff00000
	s_and_b64 vcc, s[0:1], vcc
	v_cndmask_b32_e64 v11, v14, v11, s[0:1]
	v_cndmask_b32_e32 v10, 0, v10, vcc
	v_mul_f64 v[6:7], v[10:11], v[6:7]
	v_fma_f64 v[6:7], v[8:9], 0.5, -v[6:7]
	v_mul_f64 v[8:9], v[2:3], v[6:7]
                                        ; implicit-def: $vgpr2_vgpr3
.LBB8_1462:
	s_andn2_saveexec_b64 s[0:1], s[18:19]
	s_cbranch_execz .LBB8_1464
; %bb.1463:
	s_mov_b32 s18, 0
	s_mov_b32 s19, 0x40200000
	v_div_scale_f64 v[6:7], s[20:21], v[2:3], v[2:3], s[18:19]
	v_rcp_f64_e32 v[8:9], v[6:7]
	v_fma_f64 v[10:11], -v[6:7], v[8:9], 1.0
	v_fma_f64 v[8:9], v[8:9], v[10:11], v[8:9]
	v_div_scale_f64 v[10:11], vcc, s[18:19], v[2:3], s[18:19]
	v_fma_f64 v[12:13], -v[6:7], v[8:9], 1.0
	v_fma_f64 v[8:9], v[8:9], v[12:13], v[8:9]
	v_mul_f64 v[12:13], v[10:11], v[8:9]
	v_fma_f64 v[6:7], -v[6:7], v[12:13], v[10:11]
	v_div_fmas_f64 v[6:7], v[6:7], v[8:9], v[12:13]
	v_mov_b32_e32 v8, 0x93812603
	v_mov_b32_e32 v9, 0xbc72fecc
	;; [unrolled: 1-line block ×3, first 2 shown]
	v_div_fixup_f64 v[6:7], v[6:7], v[2:3], s[18:19]
	s_mov_b32 s19, 0x3c5871a5
	s_mov_b32 s18, 0xcf8c9ee1
	v_add_f64 v[6:7], v[6:7], -2.0
	v_fma_f64 v[8:9], v[6:7], s[18:19], v[8:9]
	s_mov_b32 s19, 0xbc5871a5
	v_fma_f64 v[10:11], v[6:7], v[8:9], s[18:19]
	s_mov_b32 s18, 0x41a8cdf4
	s_mov_b32 s19, 0x3c8e092e
	v_add_f64 v[10:11], v[10:11], s[18:19]
	s_mov_b32 s18, 0x74d77641
	s_mov_b32 s19, 0xbca82f94
	v_fma_f64 v[8:9], v[6:7], v[10:11], -v[8:9]
	v_add_f64 v[8:9], v[8:9], s[18:19]
	s_mov_b32 s18, 0x6b94785b
	s_mov_b32 s19, 0x3cc3dbf9
	v_fma_f64 v[10:11], v[6:7], v[8:9], -v[10:11]
	;; [unrolled: 4-line block ×17, first 2 shown]
	v_add_f64 v[8:9], v[8:9], s[18:19]
	s_mov_b32 s18, 0
	s_brev_b32 s19, 8
	v_cmp_gt_f64_e32 vcc, s[18:19], v[2:3]
	s_mov_b32 s18, 0xcc7470a9
	s_mov_b32 s19, 0x3eed413f
	v_fma_f64 v[10:11], v[6:7], v[8:9], -v[10:11]
	v_cndmask_b32_e32 v12, 0, v12, vcc
	v_ldexp_f64 v[2:3], v[2:3], v12
	v_add_f64 v[10:11], v[10:11], s[18:19]
	s_mov_b32 s18, 0xe7889f42
	s_mov_b32 s19, 0xbf20d797
	v_rsq_f64_e32 v[12:13], v[2:3]
	v_fma_f64 v[8:9], v[6:7], v[10:11], -v[8:9]
	v_add_f64 v[8:9], v[8:9], s[18:19]
	s_mov_b32 s18, 0xfca79342
	s_mov_b32 s19, 0x3f59b891
	v_mul_f64 v[14:15], v[2:3], v[12:13]
	v_mul_f64 v[12:13], v[12:13], 0.5
	v_fma_f64 v[10:11], v[6:7], v[8:9], -v[10:11]
	v_fma_f64 v[16:17], -v[12:13], v[14:15], 0.5
	v_add_f64 v[10:11], v[10:11], s[18:19]
	s_mov_b32 s18, 0x2d4ff71e
	s_mov_b32 s19, 0xbfa019f7
	v_fma_f64 v[14:15], v[14:15], v[16:17], v[14:15]
	v_fma_f64 v[12:13], v[12:13], v[16:17], v[12:13]
	v_fma_f64 v[8:9], v[6:7], v[10:11], -v[8:9]
	v_fma_f64 v[16:17], -v[14:15], v[14:15], v[2:3]
	v_add_f64 v[8:9], v[8:9], s[18:19]
	s_mov_b32 s18, 0x9f4e6907
	s_mov_b32 s19, 0x400385bd
	v_fma_f64 v[14:15], v[16:17], v[12:13], v[14:15]
	v_fma_f64 v[6:7], v[6:7], v[8:9], -v[10:11]
	v_fma_f64 v[8:9], -v[14:15], v[14:15], v[2:3]
	v_add_f64 v[6:7], v[6:7], s[18:19]
	v_fma_f64 v[8:9], v[8:9], v[12:13], v[14:15]
	v_add_f64 v[6:7], v[6:7], -v[10:11]
	v_mov_b32_e32 v10, 0xffffff80
	v_mov_b32_e32 v11, 0x260
	v_cndmask_b32_e32 v10, 0, v10, vcc
	v_cmp_class_f64_e32 vcc, v[2:3], v11
	v_ldexp_f64 v[8:9], v[8:9], v10
	v_mul_f64 v[6:7], v[6:7], 0.5
	v_cndmask_b32_e32 v3, v9, v3, vcc
	v_cndmask_b32_e32 v2, v8, v2, vcc
	v_div_scale_f64 v[8:9], s[18:19], v[2:3], v[2:3], v[6:7]
	v_div_scale_f64 v[14:15], vcc, v[6:7], v[2:3], v[6:7]
	v_rcp_f64_e32 v[10:11], v[8:9]
	v_fma_f64 v[12:13], -v[8:9], v[10:11], 1.0
	v_fma_f64 v[10:11], v[10:11], v[12:13], v[10:11]
	v_fma_f64 v[12:13], -v[8:9], v[10:11], 1.0
	v_fma_f64 v[10:11], v[10:11], v[12:13], v[10:11]
	v_mul_f64 v[12:13], v[14:15], v[10:11]
	v_fma_f64 v[8:9], -v[8:9], v[12:13], v[14:15]
	v_div_fmas_f64 v[8:9], v[8:9], v[10:11], v[12:13]
	v_div_fixup_f64 v[8:9], v[8:9], v[2:3], v[6:7]
.LBB8_1464:
	s_or_b64 exec, exec, s[0:1]
.LBB8_1465:
	s_or_b64 exec, exec, s[16:17]
.LBB8_1466:
	s_or_b64 exec, exec, s[12:13]
	v_add_u32_e32 v2, s3, v20
	v_ashrrev_i32_e32 v3, 31, v2
	v_mov_b32_e32 v7, s11
	v_add_co_u32_e32 v6, vcc, s10, v2
	s_cmp_lt_i32 s38, 11
	v_addc_co_u32_e32 v7, vcc, v7, v3, vcc
	s_cbranch_scc1 .LBB8_1473
; %bb.1467:
	s_cmp_gt_i32 s38, 25
	s_mov_b64 s[10:11], 0
	s_cbranch_scc0 .LBB8_1474
; %bb.1468:
	s_cmp_gt_i32 s38, 28
	s_cbranch_scc0 .LBB8_1475
; %bb.1469:
	s_cmp_gt_i32 s38, 43
	;; [unrolled: 3-line block ×3, first 2 shown]
	s_cbranch_scc0 .LBB8_1478
; %bb.1471:
	s_cmp_eq_u32 s38, 46
	s_mov_b64 s[16:17], 0
	s_cbranch_scc0 .LBB8_1479
; %bb.1472:
	global_load_dword v2, v[6:7], off
	s_mov_b64 s[0:1], 0
	s_mov_b64 s[12:13], -1
	s_waitcnt vmcnt(0)
	v_lshlrev_b32_e32 v2, 16, v2
	v_cvt_f64_f32_e32 v[2:3], v2
	s_branch .LBB8_1480
.LBB8_1473:
	s_mov_b64 s[0:1], -1
	s_mov_b64 s[12:13], 0
                                        ; implicit-def: $vgpr2_vgpr3
	s_branch .LBB8_1546
.LBB8_1474:
	s_mov_b64 s[16:17], -1
	s_mov_b64 s[12:13], 0
	s_mov_b64 s[0:1], 0
                                        ; implicit-def: $vgpr2_vgpr3
	s_branch .LBB8_1511
.LBB8_1475:
	s_mov_b64 s[16:17], -1
	s_mov_b64 s[12:13], 0
	s_mov_b64 s[0:1], 0
                                        ; implicit-def: $vgpr2_vgpr3
	s_branch .LBB8_1490
.LBB8_1476:
	s_mov_b64 s[16:17], -1
	s_mov_b64 s[12:13], 0
	s_mov_b64 s[0:1], 0
                                        ; implicit-def: $vgpr2_vgpr3
	s_branch .LBB8_1485
.LBB8_1477:
	s_trap 2
	s_or_b64 s[14:15], s[14:15], exec
	s_cbranch_execz .LBB8_1408
	s_branch .LBB8_1409
.LBB8_1478:
	s_mov_b64 s[16:17], -1
	s_mov_b64 s[12:13], 0
	s_mov_b64 s[0:1], 0
                                        ; implicit-def: $vgpr2_vgpr3
	s_branch .LBB8_1480
.LBB8_1479:
	s_mov_b64 s[0:1], -1
                                        ; implicit-def: $vgpr2_vgpr3
	s_mov_b64 s[12:13], 0
.LBB8_1480:
	s_and_b64 vcc, exec, s[16:17]
	s_cbranch_vccz .LBB8_1484
; %bb.1481:
	s_cmp_eq_u32 s38, 44
	s_cbranch_scc0 .LBB8_1483
; %bb.1482:
	global_load_ubyte v10, v[6:7], off
	s_movk_i32 s3, 0xff
	v_bfrev_b32_e32 v11, 4
	v_mov_b32_e32 v12, 0x7ff80000
	v_bfrev_b32_e32 v13, 28
	s_mov_b64 s[0:1], 0
	s_mov_b64 s[12:13], -1
	s_waitcnt vmcnt(0)
	v_lshlrev_b32_e32 v2, 23, v10
	v_cvt_f64_f32_e32 v[2:3], v2
	v_cmp_ne_u32_e32 vcc, s3, v10
	v_cndmask_b32_e32 v2, v11, v2, vcc
	v_cndmask_b32_e32 v3, v12, v3, vcc
	v_cmp_ne_u32_e32 vcc, 0, v10
	v_cndmask_b32_e32 v3, v13, v3, vcc
	v_cndmask_b32_e32 v2, 0, v2, vcc
	s_branch .LBB8_1484
.LBB8_1483:
	s_mov_b64 s[0:1], -1
                                        ; implicit-def: $vgpr2_vgpr3
.LBB8_1484:
	s_mov_b64 s[16:17], 0
.LBB8_1485:
	s_and_b64 vcc, exec, s[16:17]
	s_cbranch_vccz .LBB8_1489
; %bb.1486:
	s_cmp_eq_u32 s38, 29
	s_cbranch_scc0 .LBB8_1488
; %bb.1487:
	global_load_dwordx2 v[2:3], v[6:7], off
	s_mov_b64 s[0:1], 0
	s_mov_b64 s[12:13], -1
	s_mov_b64 s[16:17], 0
	s_waitcnt vmcnt(0)
	v_cvt_f64_u32_e32 v[10:11], v3
	v_cvt_f64_u32_e32 v[2:3], v2
	v_ldexp_f64 v[10:11], v[10:11], 32
	v_add_f64 v[2:3], v[10:11], v[2:3]
	s_branch .LBB8_1490
.LBB8_1488:
	s_mov_b64 s[0:1], -1
                                        ; implicit-def: $vgpr2_vgpr3
.LBB8_1489:
	s_mov_b64 s[16:17], 0
.LBB8_1490:
	s_and_b64 vcc, exec, s[16:17]
	s_cbranch_vccz .LBB8_1510
; %bb.1491:
	s_cmp_lt_i32 s38, 27
	s_cbranch_scc1 .LBB8_1494
; %bb.1492:
	s_cmp_gt_i32 s38, 27
	s_cbranch_scc0 .LBB8_1495
; %bb.1493:
	global_load_dword v2, v[6:7], off
	s_mov_b64 s[12:13], 0
	s_waitcnt vmcnt(0)
	v_cvt_f64_u32_e32 v[2:3], v2
	s_branch .LBB8_1496
.LBB8_1494:
	s_mov_b64 s[12:13], -1
                                        ; implicit-def: $vgpr2_vgpr3
	s_branch .LBB8_1499
.LBB8_1495:
	s_mov_b64 s[12:13], -1
                                        ; implicit-def: $vgpr2_vgpr3
.LBB8_1496:
	s_andn2_b64 vcc, exec, s[12:13]
	s_cbranch_vccnz .LBB8_1498
; %bb.1497:
	global_load_ushort v2, v[6:7], off
	s_waitcnt vmcnt(0)
	v_cvt_f64_u32_e32 v[2:3], v2
.LBB8_1498:
	s_mov_b64 s[12:13], 0
.LBB8_1499:
	s_andn2_b64 vcc, exec, s[12:13]
	s_cbranch_vccnz .LBB8_1509
; %bb.1500:
	global_load_ubyte v10, v[6:7], off
	s_movk_i32 s3, 0x7f
	s_mov_b64 s[12:13], 0
	s_waitcnt vmcnt(0)
	v_cmp_lt_i16_e32 vcc, s3, v10
	s_and_saveexec_b64 s[16:17], vcc
	s_xor_b64 s[16:17], exec, s[16:17]
	s_cbranch_execz .LBB8_1504
; %bb.1501:
	s_movk_i32 s3, 0x80
	v_cmp_eq_u16_e32 vcc, s3, v10
	s_mov_b64 s[12:13], -1
	s_and_saveexec_b64 s[18:19], vcc
; %bb.1502:
	s_xor_b64 s[12:13], exec, -1
; %bb.1503:
	s_or_b64 exec, exec, s[18:19]
	s_and_b64 s[12:13], s[12:13], exec
.LBB8_1504:
	s_or_saveexec_b64 s[16:17], s[16:17]
	v_bfrev_b32_e32 v2, 4
	v_mov_b32_e32 v3, 0x7ff80000
	s_xor_b64 exec, exec, s[16:17]
; %bb.1505:
	v_cmp_ne_u16_e32 vcc, 0, v10
	v_mov_b32_e32 v2, 0
	s_andn2_b64 s[12:13], s[12:13], exec
	s_and_b64 s[18:19], vcc, exec
	v_mov_b32_e32 v3, 0
	s_or_b64 s[12:13], s[12:13], s[18:19]
; %bb.1506:
	s_or_b64 exec, exec, s[16:17]
	s_and_saveexec_b64 s[16:17], s[12:13]
	s_cbranch_execz .LBB8_1508
; %bb.1507:
	v_and_b32_e32 v3, 0xffff, v10
	v_lshlrev_b32_e32 v2, 24, v10
	v_and_b32_e32 v10, 7, v3
	v_ffbh_u32_e32 v12, v10
	v_min_u32_e32 v12, 32, v12
	v_subrev_u32_e32 v13, 28, v12
	v_bfe_u32 v11, v3, 3, 4
	v_lshlrev_b32_e32 v3, v13, v3
	v_sub_u32_e32 v12, 29, v12
	v_and_b32_e32 v3, 7, v3
	v_cmp_eq_u32_e32 vcc, 0, v11
	v_cndmask_b32_e32 v11, v11, v12, vcc
	v_cndmask_b32_e32 v3, v10, v3, vcc
	v_mov_b32_e32 v10, 0x3b800000
	v_lshlrev_b32_e32 v3, 20, v3
	v_and_b32_e32 v2, 0x80000000, v2
	v_lshl_add_u32 v10, v11, 23, v10
	v_or3_b32 v2, v2, v10, v3
	v_cvt_f64_f32_e32 v[2:3], v2
.LBB8_1508:
	s_or_b64 exec, exec, s[16:17]
.LBB8_1509:
	s_mov_b64 s[12:13], -1
.LBB8_1510:
	s_mov_b64 s[16:17], 0
.LBB8_1511:
	s_and_b64 vcc, exec, s[16:17]
	s_cbranch_vccz .LBB8_1542
; %bb.1512:
	s_cmp_gt_i32 s38, 22
	s_cbranch_scc0 .LBB8_1524
; %bb.1513:
	s_cmp_lt_i32 s38, 24
	s_cbranch_scc1 .LBB8_1525
; %bb.1514:
	s_cmp_gt_i32 s38, 24
	s_cbranch_scc0 .LBB8_1526
; %bb.1515:
	global_load_ubyte v10, v[6:7], off
	s_movk_i32 s3, 0x7f
	s_waitcnt vmcnt(0)
	v_cmp_lt_i16_e32 vcc, s3, v10
	s_and_saveexec_b64 s[12:13], vcc
	s_xor_b64 s[12:13], exec, s[12:13]
	s_cbranch_execz .LBB8_1519
; %bb.1516:
	s_movk_i32 s3, 0x80
	v_cmp_eq_u16_e32 vcc, s3, v10
	s_mov_b64 s[10:11], -1
	s_and_saveexec_b64 s[16:17], vcc
; %bb.1517:
	s_xor_b64 s[10:11], exec, -1
; %bb.1518:
	s_or_b64 exec, exec, s[16:17]
	s_and_b64 s[10:11], s[10:11], exec
.LBB8_1519:
	s_or_saveexec_b64 s[12:13], s[12:13]
	v_bfrev_b32_e32 v2, 4
	v_mov_b32_e32 v3, 0x7ff80000
	s_xor_b64 exec, exec, s[12:13]
; %bb.1520:
	v_cmp_ne_u16_e32 vcc, 0, v10
	v_mov_b32_e32 v2, 0
	s_andn2_b64 s[10:11], s[10:11], exec
	s_and_b64 s[16:17], vcc, exec
	v_mov_b32_e32 v3, 0
	s_or_b64 s[10:11], s[10:11], s[16:17]
; %bb.1521:
	s_or_b64 exec, exec, s[12:13]
	s_and_saveexec_b64 s[12:13], s[10:11]
	s_cbranch_execz .LBB8_1523
; %bb.1522:
	v_and_b32_e32 v3, 0xffff, v10
	v_lshlrev_b32_e32 v2, 24, v10
	v_and_b32_e32 v10, 3, v3
	v_ffbh_u32_e32 v12, v10
	v_min_u32_e32 v12, 32, v12
	v_subrev_u32_e32 v13, 29, v12
	v_bfe_u32 v11, v3, 2, 5
	v_lshlrev_b32_e32 v3, v13, v3
	v_sub_u32_e32 v12, 30, v12
	v_and_b32_e32 v3, 3, v3
	v_cmp_eq_u32_e32 vcc, 0, v11
	v_cndmask_b32_e32 v11, v11, v12, vcc
	v_cndmask_b32_e32 v3, v10, v3, vcc
	v_mov_b32_e32 v10, 0x37800000
	v_lshlrev_b32_e32 v3, 21, v3
	v_and_b32_e32 v2, 0x80000000, v2
	v_lshl_add_u32 v10, v11, 23, v10
	v_or3_b32 v2, v2, v10, v3
	v_cvt_f64_f32_e32 v[2:3], v2
.LBB8_1523:
	s_or_b64 exec, exec, s[12:13]
	s_mov_b64 s[10:11], 0
	s_branch .LBB8_1527
.LBB8_1524:
	s_mov_b64 s[10:11], -1
                                        ; implicit-def: $vgpr2_vgpr3
	s_branch .LBB8_1533
.LBB8_1525:
	s_mov_b64 s[10:11], -1
                                        ; implicit-def: $vgpr2_vgpr3
	s_branch .LBB8_1530
.LBB8_1526:
	s_mov_b64 s[10:11], -1
                                        ; implicit-def: $vgpr2_vgpr3
.LBB8_1527:
	s_and_b64 vcc, exec, s[10:11]
	s_cbranch_vccz .LBB8_1529
; %bb.1528:
	global_load_ubyte v2, v[6:7], off
	s_mov_b32 s3, 0x7f800000
	s_waitcnt vmcnt(0)
	v_lshlrev_b32_e32 v2, 24, v2
	v_and_b32_e32 v3, 0x7f000000, v2
	v_ffbh_u32_e32 v10, v3
	v_min_u32_e32 v10, 32, v10
	v_sub_u32_e64 v10, v10, 4 clamp
	v_lshlrev_b32_e32 v12, v10, v3
	v_lshlrev_b32_e32 v10, 23, v10
	v_lshrrev_b32_e32 v12, 4, v12
	v_add_u32_e32 v11, 0x1000000, v3
	v_sub_u32_e32 v10, v12, v10
	v_ashrrev_i32_e32 v11, 8, v11
	v_add_u32_e32 v10, 0x3c000000, v10
	v_and_or_b32 v10, v11, s3, v10
	v_cmp_ne_u32_e32 vcc, 0, v3
	v_cndmask_b32_e32 v3, 0, v10, vcc
	s_brev_b32 s3, 1
	v_and_or_b32 v2, v2, s3, v3
	v_cvt_f64_f32_e32 v[2:3], v2
.LBB8_1529:
	s_mov_b64 s[10:11], 0
.LBB8_1530:
	s_andn2_b64 vcc, exec, s[10:11]
	s_cbranch_vccnz .LBB8_1532
; %bb.1531:
	global_load_ubyte v2, v[6:7], off
	s_movk_i32 s3, 0x7f00
	s_brev_b32 s10, 16
	s_waitcnt vmcnt(0)
	v_lshlrev_b16_e32 v3, 8, v2
	v_lshlrev_b32_e32 v2, 25, v2
	v_lshrrev_b32_e32 v10, 4, v2
	v_and_or_b32 v11, v3, s3, 0.5
	v_or_b32_e32 v10, 0x70000000, v10
	v_add_f32_e32 v11, -0.5, v11
	v_mul_f32_e32 v10, 0x7800000, v10
	v_cmp_gt_u32_e32 vcc, s10, v2
	v_bfe_i32 v3, v3, 0, 16
	v_cndmask_b32_e32 v2, v10, v11, vcc
	s_brev_b32 s3, 1
	v_and_or_b32 v2, v3, s3, v2
	v_cvt_f64_f32_e32 v[2:3], v2
.LBB8_1532:
	s_mov_b64 s[10:11], 0
	s_mov_b64 s[12:13], -1
.LBB8_1533:
	s_andn2_b64 vcc, exec, s[10:11]
	s_mov_b64 s[10:11], 0
	s_cbranch_vccnz .LBB8_1542
; %bb.1534:
	s_cmp_gt_i32 s38, 14
	s_cbranch_scc0 .LBB8_1537
; %bb.1535:
	s_cmp_eq_u32 s38, 15
	s_cbranch_scc0 .LBB8_1538
; %bb.1536:
	global_load_ushort v2, v[6:7], off
	s_mov_b64 s[0:1], 0
	s_mov_b64 s[12:13], -1
	s_waitcnt vmcnt(0)
	v_lshlrev_b32_e32 v2, 16, v2
	v_cvt_f64_f32_e32 v[2:3], v2
	s_branch .LBB8_1539
.LBB8_1537:
	s_mov_b64 s[16:17], -1
                                        ; implicit-def: $vgpr2_vgpr3
	s_branch .LBB8_1540
.LBB8_1538:
	s_mov_b64 s[0:1], -1
                                        ; implicit-def: $vgpr2_vgpr3
.LBB8_1539:
	s_mov_b64 s[16:17], 0
.LBB8_1540:
	s_and_b64 vcc, exec, s[16:17]
	s_cbranch_vccz .LBB8_1542
; %bb.1541:
	s_cmp_lg_u32 s38, 11
	s_mov_b64 s[10:11], -1
	s_cselect_b64 s[0:1], -1, 0
.LBB8_1542:
	s_and_b64 vcc, exec, s[0:1]
	s_cbranch_vccnz .LBB8_2085
; %bb.1543:
	s_andn2_b64 vcc, exec, s[10:11]
	s_cbranch_vccnz .LBB8_1545
.LBB8_1544:
	global_load_ubyte v3, v[6:7], off
	v_mov_b32_e32 v10, 0x3ff00000
	v_mov_b32_e32 v2, 0
	s_mov_b64 s[12:13], -1
	s_waitcnt vmcnt(0)
	v_cmp_ne_u16_e32 vcc, 0, v3
	v_cndmask_b32_e32 v3, 0, v10, vcc
.LBB8_1545:
	s_mov_b64 s[0:1], 0
.LBB8_1546:
	s_and_b64 vcc, exec, s[0:1]
	s_cbranch_vccz .LBB8_1595
; %bb.1547:
	s_cmp_lt_i32 s38, 5
	s_cbranch_scc1 .LBB8_1552
; %bb.1548:
	s_cmp_lt_i32 s38, 8
	s_cbranch_scc1 .LBB8_1553
	;; [unrolled: 3-line block ×3, first 2 shown]
; %bb.1550:
	s_cmp_gt_i32 s38, 9
	s_cbranch_scc0 .LBB8_1555
; %bb.1551:
	global_load_dwordx2 v[2:3], v[6:7], off
	s_mov_b64 s[0:1], 0
	s_branch .LBB8_1556
.LBB8_1552:
	s_mov_b64 s[0:1], -1
                                        ; implicit-def: $vgpr2_vgpr3
	s_branch .LBB8_1574
.LBB8_1553:
	s_mov_b64 s[0:1], -1
                                        ; implicit-def: $vgpr2_vgpr3
	s_branch .LBB8_1562
.LBB8_1554:
	s_mov_b64 s[0:1], -1
                                        ; implicit-def: $vgpr2_vgpr3
	s_branch .LBB8_1559
.LBB8_1555:
	s_mov_b64 s[0:1], -1
                                        ; implicit-def: $vgpr2_vgpr3
.LBB8_1556:
	s_andn2_b64 vcc, exec, s[0:1]
	s_cbranch_vccnz .LBB8_1558
; %bb.1557:
	global_load_dword v2, v[6:7], off
	s_waitcnt vmcnt(0)
	v_cvt_f64_f32_e32 v[2:3], v2
.LBB8_1558:
	s_mov_b64 s[0:1], 0
.LBB8_1559:
	s_andn2_b64 vcc, exec, s[0:1]
	s_cbranch_vccnz .LBB8_1561
; %bb.1560:
	global_load_dword v2, v[6:7], off
	s_waitcnt vmcnt(0)
	v_cvt_f32_f16_e32 v2, v2
	v_cvt_f64_f32_e32 v[2:3], v2
.LBB8_1561:
	s_mov_b64 s[0:1], 0
.LBB8_1562:
	s_andn2_b64 vcc, exec, s[0:1]
	s_cbranch_vccnz .LBB8_1573
; %bb.1563:
	s_cmp_lt_i32 s38, 6
	s_cbranch_scc1 .LBB8_1566
; %bb.1564:
	s_cmp_gt_i32 s38, 6
	s_cbranch_scc0 .LBB8_1567
; %bb.1565:
	global_load_dwordx2 v[2:3], v[6:7], off
	s_mov_b64 s[0:1], 0
	s_branch .LBB8_1568
.LBB8_1566:
	s_mov_b64 s[0:1], -1
                                        ; implicit-def: $vgpr2_vgpr3
	s_branch .LBB8_1571
.LBB8_1567:
	s_mov_b64 s[0:1], -1
                                        ; implicit-def: $vgpr2_vgpr3
.LBB8_1568:
	s_andn2_b64 vcc, exec, s[0:1]
	s_cbranch_vccnz .LBB8_1570
; %bb.1569:
	global_load_dword v2, v[6:7], off
	s_waitcnt vmcnt(0)
	v_cvt_f64_f32_e32 v[2:3], v2
.LBB8_1570:
	s_mov_b64 s[0:1], 0
.LBB8_1571:
	s_andn2_b64 vcc, exec, s[0:1]
	s_cbranch_vccnz .LBB8_1573
; %bb.1572:
	global_load_ushort v2, v[6:7], off
	s_waitcnt vmcnt(0)
	v_cvt_f32_f16_e32 v2, v2
	v_cvt_f64_f32_e32 v[2:3], v2
.LBB8_1573:
	s_mov_b64 s[0:1], 0
.LBB8_1574:
	s_andn2_b64 vcc, exec, s[0:1]
	s_cbranch_vccnz .LBB8_1594
; %bb.1575:
	s_cmp_lt_i32 s38, 2
	s_cbranch_scc1 .LBB8_1579
; %bb.1576:
	s_cmp_lt_i32 s38, 3
	s_cbranch_scc1 .LBB8_1580
; %bb.1577:
	s_cmp_gt_i32 s38, 3
	s_cbranch_scc0 .LBB8_1581
; %bb.1578:
	global_load_dwordx2 v[2:3], v[6:7], off
	s_mov_b64 s[0:1], 0
	s_waitcnt vmcnt(0)
	v_cvt_f64_i32_e32 v[10:11], v3
	v_cvt_f64_u32_e32 v[2:3], v2
	v_ldexp_f64 v[10:11], v[10:11], 32
	v_add_f64 v[2:3], v[10:11], v[2:3]
	s_branch .LBB8_1582
.LBB8_1579:
	s_mov_b64 s[0:1], -1
                                        ; implicit-def: $vgpr2_vgpr3
	s_branch .LBB8_1588
.LBB8_1580:
	s_mov_b64 s[0:1], -1
                                        ; implicit-def: $vgpr2_vgpr3
	s_branch .LBB8_1585
.LBB8_1581:
	s_mov_b64 s[0:1], -1
                                        ; implicit-def: $vgpr2_vgpr3
.LBB8_1582:
	s_andn2_b64 vcc, exec, s[0:1]
	s_cbranch_vccnz .LBB8_1584
; %bb.1583:
	global_load_dword v2, v[6:7], off
	s_waitcnt vmcnt(0)
	v_cvt_f64_i32_e32 v[2:3], v2
.LBB8_1584:
	s_mov_b64 s[0:1], 0
.LBB8_1585:
	s_andn2_b64 vcc, exec, s[0:1]
	s_cbranch_vccnz .LBB8_1587
; %bb.1586:
	global_load_sshort v2, v[6:7], off
	s_waitcnt vmcnt(0)
	v_cvt_f64_i32_e32 v[2:3], v2
.LBB8_1587:
	s_mov_b64 s[0:1], 0
.LBB8_1588:
	s_andn2_b64 vcc, exec, s[0:1]
	s_cbranch_vccnz .LBB8_1594
; %bb.1589:
	s_cmp_gt_i32 s38, 0
	s_cbranch_scc0 .LBB8_1591
; %bb.1590:
	global_load_sbyte v2, v[6:7], off
	s_mov_b64 s[0:1], 0
	s_waitcnt vmcnt(0)
	v_cvt_f64_i32_e32 v[2:3], v2
	s_branch .LBB8_1592
.LBB8_1591:
	s_mov_b64 s[0:1], -1
                                        ; implicit-def: $vgpr2_vgpr3
.LBB8_1592:
	s_andn2_b64 vcc, exec, s[0:1]
	s_cbranch_vccnz .LBB8_1594
; %bb.1593:
	global_load_ubyte v2, v[6:7], off
	s_waitcnt vmcnt(0)
	v_cvt_f64_u32_e32 v[2:3], v2
.LBB8_1594:
	s_mov_b64 s[12:13], -1
.LBB8_1595:
	s_andn2_b64 vcc, exec, s[12:13]
	s_cbranch_vccnz .LBB8_1682
; %bb.1596:
	s_waitcnt vmcnt(0)
	v_cmp_neq_f64_e32 vcc, 0, v[2:3]
	v_mov_b32_e32 v12, 0
	v_mov_b32_e32 v13, 0x7ff00000
	s_and_saveexec_b64 s[10:11], vcc
	s_cbranch_execz .LBB8_1604
; %bb.1597:
	v_cmp_ngt_f64_e32 vcc, 0, v[2:3]
	v_mov_b32_e32 v12, 0
	v_mov_b32_e32 v13, 0x7ff80000
	s_and_saveexec_b64 s[12:13], vcc
	s_cbranch_execz .LBB8_1603
; %bb.1598:
	v_cmp_ge_f64_e32 vcc, 2.0, v[2:3]
                                        ; implicit-def: $vgpr12_vgpr13
	s_and_saveexec_b64 s[0:1], vcc
	s_xor_b64 s[16:17], exec, s[0:1]
	s_cbranch_execz .LBB8_1600
; %bb.1599:
	v_fma_f64 v[6:7], v[2:3], 0.5, -2.0
	v_mov_b32_e32 v10, 0x977da589
	v_mov_b32_e32 v11, 0x3c833362
	s_mov_b32 s1, 0xbc545cb7
	s_mov_b32 s0, 0x2134d0ef
	;; [unrolled: 1-line block ×5, first 2 shown]
	v_fma_f64 v[10:11], v[6:7], s[0:1], v[10:11]
	s_mov_b32 s1, 0x3c545cb7
	s_mov_b32 s21, 0x3fc7474d
	;; [unrolled: 1-line block ×7, first 2 shown]
	v_fma_f64 v[12:13], v[6:7], v[10:11], s[0:1]
	s_mov_b32 s0, 0x721ebbb4
	s_mov_b32 s1, 0xbcb184eb
	;; [unrolled: 1-line block ×7, first 2 shown]
	v_add_f64 v[12:13], v[12:13], s[0:1]
	s_mov_b32 s0, 0x93f65eba
	s_mov_b32 s1, 0x3cdee6d8
	;; [unrolled: 1-line block ×7, first 2 shown]
	v_fma_f64 v[10:11], v[6:7], v[12:13], -v[10:11]
	s_mov_b32 s41, 0x3da6c25c
	s_mov_b32 s30, 0x342d06ea
	;; [unrolled: 1-line block ×3, first 2 shown]
	v_add_f64 v[10:11], v[10:11], s[0:1]
	s_mov_b32 s0, 0xc297fbeb
	s_mov_b32 s1, 0xbd0a5022
	v_fma_f64 v[12:13], v[6:7], v[10:11], -v[12:13]
	v_add_f64 v[12:13], v[12:13], s[0:1]
	s_mov_b32 s0, 0x4b262627
	s_mov_b32 s1, 0x3d359b46
	v_fma_f64 v[10:11], v[6:7], v[12:13], -v[10:11]
	;; [unrolled: 4-line block ×4, first 2 shown]
	v_add_f64 v[14:15], v[10:11], s[0:1]
	v_mul_f64 v[10:11], v[2:3], 0.5
	s_mov_b32 s1, 0x3fe55555
	s_mov_b32 s0, 0x55555555
	v_fma_f64 v[12:13], v[6:7], v[14:15], -v[12:13]
	v_frexp_mant_f64_e32 v[16:17], v[10:11]
	v_frexp_exp_i32_f64_e32 v33, v[10:11]
	v_add_f64 v[12:13], v[12:13], s[18:19]
	v_cmp_gt_f64_e32 vcc, s[0:1], v[16:17]
	s_mov_b32 s18, 0xcc743c10
	s_mov_b32 s19, 0x3dda98be
	;; [unrolled: 1-line block ×3, first 2 shown]
	v_fma_f64 v[14:15], v[6:7], v[12:13], -v[14:15]
	v_cndmask_b32_e64 v18, 0, 1, vcc
	v_ldexp_f64 v[16:17], v[16:17], v18
	v_subbrev_co_u32_e32 v33, vcc, 0, v33, vcc
	v_cvt_f64_i32_e32 v[33:34], v33
	v_add_f64 v[14:15], v[14:15], s[18:19]
	s_mov_b32 s18, 0x13ae9556
	v_add_f64 v[18:19], v[16:17], 1.0
	s_mov_b32 s19, 0xbe01d4fe
	v_add_f64 v[24:25], v[16:17], -1.0
	v_fma_f64 v[12:13], v[6:7], v[14:15], -v[12:13]
	v_rcp_f64_e32 v[20:21], v[18:19]
	v_add_f64 v[27:28], v[18:19], -1.0
	v_add_f64 v[12:13], v[12:13], s[18:19]
	s_mov_b32 s18, 0xa454cb34
	s_mov_b32 s19, 0x3e26d903
	v_add_f64 v[16:17], v[16:17], -v[27:28]
	v_fma_f64 v[14:15], v[6:7], v[12:13], -v[14:15]
	v_fma_f64 v[22:23], -v[18:19], v[20:21], 1.0
	v_add_f64 v[14:15], v[14:15], s[18:19]
	s_mov_b32 s18, 0x8c0b30ab
	v_fma_f64 v[20:21], v[22:23], v[20:21], v[20:21]
	s_mov_b32 s19, 0xbe4beaf6
	v_fma_f64 v[12:13], v[6:7], v[14:15], -v[12:13]
	v_fma_f64 v[22:23], -v[18:19], v[20:21], 1.0
	v_fma_f64 v[20:21], v[22:23], v[20:21], v[20:21]
	v_add_f64 v[22:23], v[12:13], s[18:19]
	s_mov_b32 s18, 0x9d4d6435
	s_mov_b32 s19, 0x3e703b76
	v_mul_f64 v[12:13], v[24:25], v[20:21]
	v_fma_f64 v[14:15], v[6:7], v[22:23], -v[14:15]
	v_mul_f64 v[29:30], v[18:19], v[12:13]
	v_add_f64 v[14:15], v[14:15], s[18:19]
	s_mov_b32 s18, 0x8f227f8d
	s_mov_b32 s19, 0xbe91ec63
	v_fma_f64 v[18:19], v[12:13], v[18:19], -v[29:30]
	v_fma_f64 v[22:23], v[6:7], v[14:15], -v[22:23]
	v_fma_f64 v[16:17], v[12:13], v[16:17], v[18:19]
	v_add_f64 v[18:19], v[22:23], s[18:19]
	s_mov_b32 s18, 0x978cf4ac
	s_mov_b32 s19, 0x3eb2bf24
	v_add_f64 v[22:23], v[29:30], v[16:17]
	v_fma_f64 v[14:15], v[6:7], v[18:19], -v[14:15]
	v_add_f64 v[27:28], v[24:25], -v[22:23]
	v_add_f64 v[14:15], v[14:15], s[18:19]
	v_add_f64 v[29:30], v[22:23], -v[29:30]
	s_mov_b32 s18, 0xcba56427
	s_mov_b32 s19, 0xbed2866f
	v_add_f64 v[24:25], v[24:25], -v[27:28]
	v_fma_f64 v[18:19], v[6:7], v[14:15], -v[18:19]
	v_add_f64 v[16:17], v[29:30], -v[16:17]
	v_mov_b32_e32 v29, 0xc384c2aa
	v_mov_b32_e32 v30, 0x3d27fb0a
	v_add_f64 v[22:23], v[24:25], -v[22:23]
	v_add_f64 v[18:19], v[18:19], s[18:19]
	s_mov_b32 s18, 0xbe9a2859
	s_mov_b32 s19, 0x3ef13f58
	v_mov_b32_e32 v24, 0x6b47b09a
	v_mov_b32_e32 v25, 0x3fc38538
	v_add_f64 v[16:17], v[16:17], v[22:23]
	v_fma_f64 v[14:15], v[6:7], v[18:19], -v[14:15]
	v_add_f64 v[16:17], v[27:28], v[16:17]
	v_add_f64 v[22:23], v[14:15], s[18:19]
	s_mov_b32 s18, 0x59c41d5a
	s_mov_b32 s19, 0xbf0e2b26
	v_mul_f64 v[14:15], v[20:21], v[16:17]
	v_fma_f64 v[18:19], v[6:7], v[22:23], -v[18:19]
	v_add_f64 v[16:17], v[12:13], v[14:15]
	v_add_f64 v[18:19], v[18:19], s[18:19]
	s_mov_b32 s18, 0xbf559e2b
	s_mov_b32 s19, 0x3fc3ab76
	v_mul_f64 v[20:21], v[16:17], v[16:17]
	v_fma_f64 v[22:23], v[6:7], v[18:19], -v[22:23]
	v_add_f64 v[12:13], v[16:17], -v[12:13]
	v_fma_f64 v[27:28], v[20:21], s[18:19], v[24:25]
	s_mov_b32 s18, 0x74107cab
	s_mov_b32 s19, 0x3f28b51b
	v_add_f64 v[24:25], v[22:23], s[18:19]
	v_mul_f64 v[31:32], v[16:17], v[20:21]
	s_mov_b32 s19, 0x3fe62e42
	s_mov_b32 s18, 0xfefa39ef
	v_mul_f64 v[37:38], v[33:34], s[18:19]
	v_fma_f64 v[22:23], v[20:21], v[27:28], s[20:21]
	v_add_f64 v[14:15], v[14:15], -v[12:13]
	s_mov_b32 s21, 0x3c7abc9e
	v_fma_f64 v[18:19], v[6:7], v[24:25], -v[18:19]
	s_mov_b32 s20, 0x3b39803f
	v_fma_f64 v[27:28], v[20:21], v[22:23], s[22:23]
	s_mov_b32 s22, 0xf3dde3dd
	s_mov_b32 s23, 0x3f859961
	v_add_f64 v[22:23], v[18:19], s[24:25]
	v_fma_f64 v[18:19], v[2:3], v[2:3], -2.0
	v_ldexp_f64 v[14:15], v[14:15], 1
	s_mov_b32 s24, 0xf121b6f0
	s_mov_b32 s25, 0xbf984e9e
	v_fma_f64 v[27:28], v[20:21], v[27:28], s[26:27]
	s_mov_b32 s26, 0xcea8a32d
	s_mov_b32 s27, 0x3fa93e8a
	v_fma_f64 v[24:25], v[6:7], v[22:23], -v[24:25]
	v_fma_f64 v[27:28], v[20:21], v[27:28], s[36:37]
	s_mov_b32 s37, 0x3ca3cee1
	s_mov_b32 s36, 0xe6a7fd77
	v_add_f64 v[24:25], v[24:25], s[34:35]
	v_fma_f64 v[29:30], v[18:19], s[36:37], v[29:30]
	s_mov_b32 s37, 0xbca3cee1
	s_mov_b32 s34, 0xc057cd8d
	;; [unrolled: 1-line block ×3, first 2 shown]
	v_fma_f64 v[20:21], v[20:21], v[27:28], s[0:1]
	v_ldexp_f64 v[27:28], v[16:17], 1
	s_mov_b32 s0, 0x77ac88c0
	v_fma_f64 v[22:23], v[6:7], v[24:25], -v[22:23]
	v_fma_f64 v[35:36], v[18:19], v[29:30], s[36:37]
	s_mov_b32 s1, 0x3fc5f7ac
	v_mul_f64 v[20:21], v[31:32], v[20:21]
	v_mul_f64 v[31:32], v[2:3], s[38:39]
	v_add_f64 v[22:23], v[22:23], s[28:29]
	s_mov_b32 s28, 0x67e58a13
	s_mov_b32 s29, 0x3e205c13
	v_add_f64 v[16:17], v[27:28], v[20:21]
	v_rndne_f64_e32 v[12:13], v[31:32]
	v_add_f64 v[31:32], v[35:36], s[40:41]
	v_fma_f64 v[24:25], v[6:7], v[22:23], -v[24:25]
	v_fma_f64 v[35:36], v[33:34], s[18:19], -v[37:38]
	s_mov_b32 s19, 0xbfe62e42
	v_add_f64 v[27:28], v[16:17], -v[27:28]
	v_fma_f64 v[2:3], v[12:13], s[18:19], v[2:3]
	v_fma_f64 v[29:30], v[18:19], v[31:32], -v[29:30]
	v_add_f64 v[24:25], v[24:25], s[22:23]
	v_fma_f64 v[33:34], v[33:34], s[20:21], v[35:36]
	s_mov_b32 s21, 0xbc7abc9e
	s_mov_b32 s18, 0x6a5dcb37
	;; [unrolled: 1-line block ×3, first 2 shown]
	v_add_f64 v[20:21], v[20:21], -v[27:28]
	v_fma_f64 v[2:3], v[12:13], s[20:21], v[2:3]
	v_mov_b32_e32 v27, 0xfca7ab0c
	v_fma_f64 v[22:23], v[6:7], v[24:25], -v[22:23]
	v_mov_b32_e32 v28, 0x3e928af3
	s_mov_b32 s20, 0x623fde64
	s_mov_b32 s21, 0x3ec71dee
	;; [unrolled: 1-line block ×3, first 2 shown]
	v_add_f64 v[14:15], v[14:15], v[20:21]
	v_fma_f64 v[27:28], v[2:3], s[18:19], v[27:28]
	s_mov_b32 s18, 0xe7f95efc
	v_add_f64 v[20:21], v[22:23], s[24:25]
	v_add_f64 v[22:23], v[29:30], s[28:29]
	;; [unrolled: 1-line block ×3, first 2 shown]
	s_mov_b32 s19, 0x3e9102bc
	s_mov_b32 s23, 0x3efa0199
	v_add_f64 v[35:36], v[16:17], v[14:15]
	v_fma_f64 v[27:28], v[2:3], v[27:28], s[20:21]
	s_mov_b32 s20, 0xfe8cfca0
	v_fma_f64 v[24:25], v[6:7], v[20:21], -v[24:25]
	v_fma_f64 v[31:32], v[18:19], v[22:23], -v[31:32]
	s_mov_b32 s21, 0x3ef7f900
	v_add_f64 v[37:38], v[29:30], -v[37:38]
	v_add_f64 v[39:40], v[29:30], v[35:36]
	v_fma_f64 v[27:28], v[2:3], v[27:28], s[22:23]
	v_add_f64 v[16:17], v[35:36], -v[16:17]
	v_add_f64 v[24:25], v[24:25], s[26:27]
	v_add_f64 v[31:32], v[31:32], s[18:19]
	s_mov_b32 s18, 0x14761f6e
	s_mov_b32 s19, 0x3f2a01a0
	;; [unrolled: 1-line block ×3, first 2 shown]
	v_add_f64 v[41:42], v[39:40], -v[29:30]
	v_fma_f64 v[27:28], v[2:3], v[27:28], s[18:19]
	s_mov_b32 s23, 0x3f56c16c
	v_fma_f64 v[20:21], v[6:7], v[24:25], -v[20:21]
	v_fma_f64 v[22:23], v[18:19], v[31:32], -v[22:23]
	v_add_f64 v[33:34], v[33:34], -v[37:38]
	v_add_f64 v[14:15], v[14:15], -v[16:17]
	s_mov_b32 s18, 0x11122322
	v_add_f64 v[43:44], v[39:40], -v[41:42]
	v_fma_f64 v[27:28], v[2:3], v[27:28], s[22:23]
	v_add_f64 v[16:17], v[35:36], -v[41:42]
	v_add_f64 v[20:21], v[20:21], s[30:31]
	v_add_f64 v[22:23], v[22:23], s[20:21]
	s_mov_b32 s19, 0x3f811111
	s_mov_b32 s20, 0x75633d73
	;; [unrolled: 1-line block ×3, first 2 shown]
	v_add_f64 v[29:30], v[29:30], -v[43:44]
	v_fma_f64 v[27:28], v[2:3], v[27:28], s[18:19]
	v_add_f64 v[35:36], v[33:34], v[14:15]
	v_fma_f64 v[24:25], v[6:7], v[20:21], -v[24:25]
	v_fma_f64 v[31:32], v[18:19], v[22:23], -v[31:32]
	s_mov_b32 s18, 0x55555511
	s_mov_b32 s19, 0x3fc55555
	v_add_f64 v[16:17], v[16:17], v[29:30]
	v_add_f64 v[24:25], v[24:25], s[0:1]
	v_add_f64 v[29:30], v[31:32], s[20:21]
	s_mov_b32 s0, 0x555502a1
	s_mov_b32 s1, 0x3fa55555
	v_fma_f64 v[27:28], v[2:3], v[27:28], s[0:1]
	v_add_f64 v[31:32], v[35:36], -v[33:34]
	v_add_f64 v[16:17], v[35:36], v[16:17]
	s_mov_b32 s0, 0x554a9085
	v_fma_f64 v[20:21], v[6:7], v[24:25], -v[20:21]
	v_fma_f64 v[22:23], v[18:19], v[29:30], -v[22:23]
	s_mov_b32 s1, 0x3fa26bf6
	v_fma_f64 v[27:28], v[2:3], v[27:28], s[18:19]
	v_add_f64 v[35:36], v[35:36], -v[31:32]
	v_add_f64 v[37:38], v[39:40], v[16:17]
	v_add_f64 v[14:15], v[14:15], -v[31:32]
	v_add_f64 v[20:21], v[20:21], s[34:35]
	v_add_f64 v[22:23], v[22:23], s[0:1]
	s_mov_b32 s0, 11
	s_mov_b32 s1, 0x3fe00000
	v_fma_f64 v[27:28], v[2:3], v[27:28], s[0:1]
	v_add_f64 v[31:32], v[33:34], -v[35:36]
	v_add_f64 v[33:34], v[37:38], -v[39:40]
	s_mov_b32 s0, 0x9035a22a
	v_fma_f64 v[6:7], v[6:7], v[20:21], -v[24:25]
	v_fma_f64 v[20:21], v[18:19], v[22:23], -v[29:30]
	s_mov_b32 s1, 0x3fe5a84e
	s_mov_b32 s18, 0x81213db9
	v_fma_f64 v[27:28], v[2:3], v[27:28], 1.0
	s_mov_b32 s19, 0x3fd608d8
	v_add_f64 v[14:15], v[14:15], v[31:32]
	v_add_f64 v[16:17], v[16:17], -v[33:34]
	v_add_f64 v[6:7], v[6:7], s[0:1]
	v_add_f64 v[20:21], v[20:21], s[18:19]
	s_mov_b32 s0, 0xe9d2f61f
	s_mov_b32 s18, 0
	v_fma_f64 v[2:3], v[2:3], v[27:28], 1.0
	s_mov_b32 s1, 0xbfe12166
	s_mov_b32 s19, 0x7ff00000
	v_add_f64 v[14:15], v[14:15], v[16:17]
	v_add_f64 v[6:7], v[6:7], -v[24:25]
	v_fma_f64 v[16:17], v[18:19], v[20:21], -v[22:23]
	v_cvt_i32_f64_e32 v18, v[12:13]
	v_cmp_neq_f64_e32 vcc, s[18:19], v[10:11]
	v_ldexp_f64 v[2:3], v[2:3], v18
	v_add_f64 v[12:13], v[37:38], v[14:15]
	v_mul_f64 v[6:7], v[6:7], 0.5
	v_add_f64 v[14:15], v[16:17], s[0:1]
	v_cmp_neq_f64_e64 s[0:1], 0, v[10:11]
	v_mov_b32_e32 v16, 0x7ff00000
	v_cndmask_b32_e32 v13, v16, v13, vcc
	v_mul_f64 v[6:7], v[2:3], v[6:7]
	v_mov_b32_e32 v16, 0xfff00000
	s_and_b64 vcc, s[0:1], vcc
	v_cndmask_b32_e64 v13, v16, v13, s[0:1]
	v_cndmask_b32_e32 v12, 0, v12, vcc
	v_add_f64 v[10:11], v[14:15], -v[22:23]
	v_mul_f64 v[6:7], v[12:13], v[6:7]
	v_fma_f64 v[6:7], v[10:11], 0.5, -v[6:7]
	v_mul_f64 v[12:13], v[2:3], v[6:7]
                                        ; implicit-def: $vgpr2_vgpr3
.LBB8_1600:
	s_andn2_saveexec_b64 s[0:1], s[16:17]
	s_cbranch_execz .LBB8_1602
; %bb.1601:
	s_mov_b32 s16, 0
	s_mov_b32 s17, 0x40200000
	v_div_scale_f64 v[6:7], s[18:19], v[2:3], v[2:3], s[16:17]
	v_rcp_f64_e32 v[10:11], v[6:7]
	v_fma_f64 v[12:13], -v[6:7], v[10:11], 1.0
	v_fma_f64 v[10:11], v[10:11], v[12:13], v[10:11]
	v_div_scale_f64 v[12:13], vcc, s[16:17], v[2:3], s[16:17]
	v_fma_f64 v[14:15], -v[6:7], v[10:11], 1.0
	v_fma_f64 v[10:11], v[10:11], v[14:15], v[10:11]
	v_mul_f64 v[14:15], v[12:13], v[10:11]
	v_fma_f64 v[6:7], -v[6:7], v[14:15], v[12:13]
	v_div_fmas_f64 v[6:7], v[6:7], v[10:11], v[14:15]
	v_mov_b32_e32 v10, 0x93812603
	v_mov_b32_e32 v11, 0xbc72fecc
	;; [unrolled: 1-line block ×3, first 2 shown]
	v_div_fixup_f64 v[6:7], v[6:7], v[2:3], s[16:17]
	s_mov_b32 s17, 0x3c5871a5
	s_mov_b32 s16, 0xcf8c9ee1
	v_add_f64 v[6:7], v[6:7], -2.0
	v_fma_f64 v[10:11], v[6:7], s[16:17], v[10:11]
	s_mov_b32 s17, 0xbc5871a5
	v_fma_f64 v[12:13], v[6:7], v[10:11], s[16:17]
	s_mov_b32 s16, 0x41a8cdf4
	s_mov_b32 s17, 0x3c8e092e
	v_add_f64 v[12:13], v[12:13], s[16:17]
	s_mov_b32 s16, 0x74d77641
	s_mov_b32 s17, 0xbca82f94
	v_fma_f64 v[10:11], v[6:7], v[12:13], -v[10:11]
	v_add_f64 v[10:11], v[10:11], s[16:17]
	s_mov_b32 s16, 0x6b94785b
	s_mov_b32 s17, 0x3cc3dbf9
	v_fma_f64 v[12:13], v[6:7], v[10:11], -v[12:13]
	;; [unrolled: 4-line block ×17, first 2 shown]
	v_add_f64 v[10:11], v[10:11], s[16:17]
	s_mov_b32 s16, 0
	s_brev_b32 s17, 8
	v_cmp_gt_f64_e32 vcc, s[16:17], v[2:3]
	s_mov_b32 s16, 0xcc7470a9
	s_mov_b32 s17, 0x3eed413f
	v_fma_f64 v[12:13], v[6:7], v[10:11], -v[12:13]
	v_cndmask_b32_e32 v14, 0, v14, vcc
	v_ldexp_f64 v[2:3], v[2:3], v14
	v_add_f64 v[12:13], v[12:13], s[16:17]
	s_mov_b32 s16, 0xe7889f42
	s_mov_b32 s17, 0xbf20d797
	v_rsq_f64_e32 v[14:15], v[2:3]
	v_fma_f64 v[10:11], v[6:7], v[12:13], -v[10:11]
	v_add_f64 v[10:11], v[10:11], s[16:17]
	s_mov_b32 s16, 0xfca79342
	s_mov_b32 s17, 0x3f59b891
	v_mul_f64 v[16:17], v[2:3], v[14:15]
	v_mul_f64 v[14:15], v[14:15], 0.5
	v_fma_f64 v[12:13], v[6:7], v[10:11], -v[12:13]
	v_fma_f64 v[18:19], -v[14:15], v[16:17], 0.5
	v_add_f64 v[12:13], v[12:13], s[16:17]
	s_mov_b32 s16, 0x2d4ff71e
	s_mov_b32 s17, 0xbfa019f7
	v_fma_f64 v[16:17], v[16:17], v[18:19], v[16:17]
	v_fma_f64 v[14:15], v[14:15], v[18:19], v[14:15]
	v_fma_f64 v[10:11], v[6:7], v[12:13], -v[10:11]
	v_fma_f64 v[18:19], -v[16:17], v[16:17], v[2:3]
	v_add_f64 v[10:11], v[10:11], s[16:17]
	s_mov_b32 s16, 0x9f4e6907
	s_mov_b32 s17, 0x400385bd
	v_fma_f64 v[16:17], v[18:19], v[14:15], v[16:17]
	v_fma_f64 v[6:7], v[6:7], v[10:11], -v[12:13]
	v_fma_f64 v[10:11], -v[16:17], v[16:17], v[2:3]
	v_add_f64 v[6:7], v[6:7], s[16:17]
	v_fma_f64 v[10:11], v[10:11], v[14:15], v[16:17]
	v_add_f64 v[6:7], v[6:7], -v[12:13]
	v_mov_b32_e32 v12, 0xffffff80
	v_mov_b32_e32 v13, 0x260
	v_cndmask_b32_e32 v12, 0, v12, vcc
	v_cmp_class_f64_e32 vcc, v[2:3], v13
	v_ldexp_f64 v[10:11], v[10:11], v12
	v_mul_f64 v[6:7], v[6:7], 0.5
	v_cndmask_b32_e32 v3, v11, v3, vcc
	v_cndmask_b32_e32 v2, v10, v2, vcc
	v_div_scale_f64 v[10:11], s[16:17], v[2:3], v[2:3], v[6:7]
	v_div_scale_f64 v[16:17], vcc, v[6:7], v[2:3], v[6:7]
	v_rcp_f64_e32 v[12:13], v[10:11]
	v_fma_f64 v[14:15], -v[10:11], v[12:13], 1.0
	v_fma_f64 v[12:13], v[12:13], v[14:15], v[12:13]
	v_fma_f64 v[14:15], -v[10:11], v[12:13], 1.0
	v_fma_f64 v[12:13], v[12:13], v[14:15], v[12:13]
	v_mul_f64 v[14:15], v[16:17], v[12:13]
	v_fma_f64 v[10:11], -v[10:11], v[14:15], v[16:17]
	v_div_fmas_f64 v[10:11], v[10:11], v[12:13], v[14:15]
	v_div_fixup_f64 v[12:13], v[10:11], v[2:3], v[6:7]
.LBB8_1602:
	s_or_b64 exec, exec, s[0:1]
.LBB8_1603:
	s_or_b64 exec, exec, s[12:13]
.LBB8_1604:
	s_or_b64 exec, exec, s[10:11]
	v_mul_lo_u32 v10, s2, v26
	v_mov_b32_e32 v2, s9
	s_and_b32 s20, s33, 0xff
	s_cmp_lt_i32 s20, 11
	v_ashrrev_i32_e32 v3, 31, v10
	v_add_co_u32_e32 v6, vcc, s8, v10
	v_addc_co_u32_e32 v7, vcc, v2, v3, vcc
	s_cbranch_scc1 .LBB8_1728
; %bb.1605:
	s_and_b32 s3, 0xffff, s20
	s_mov_b64 s[16:17], -1
	s_mov_b64 s[10:11], 0
	s_cmp_gt_i32 s3, 25
	s_mov_b64 s[12:13], 0
	s_mov_b64 s[0:1], 0
	s_cbranch_scc0 .LBB8_1638
; %bb.1606:
	s_cmp_gt_i32 s3, 28
	s_cbranch_scc0 .LBB8_1621
; %bb.1607:
	s_cmp_gt_i32 s3, 43
	;; [unrolled: 3-line block ×3, first 2 shown]
	s_cbranch_scc0 .LBB8_1611
; %bb.1609:
	s_mov_b64 s[0:1], -1
	s_mov_b64 s[16:17], 0
	s_cmp_eq_u32 s3, 46
	s_cbranch_scc0 .LBB8_1611
; %bb.1610:
	v_cvt_f32_f64_e32 v2, v[0:1]
	s_movk_i32 s0, 0x7fff
	v_mov_b32_e32 v3, 0x7fc0
	s_mov_b64 s[12:13], -1
	v_bfe_u32 v11, v2, 16, 1
	v_cmp_o_f32_e32 vcc, v2, v2
	v_add3_u32 v2, v2, v11, s0
	v_cndmask_b32_sdwa v2, v3, v2, vcc dst_sel:DWORD dst_unused:UNUSED_PAD src0_sel:DWORD src1_sel:WORD_1
	global_store_dword v[6:7], v2, off
	s_mov_b64 s[0:1], 0
.LBB8_1611:
	s_and_b64 vcc, exec, s[16:17]
	s_cbranch_vccz .LBB8_1616
; %bb.1612:
	s_cmp_eq_u32 s3, 44
	s_mov_b64 s[0:1], -1
	s_cbranch_scc0 .LBB8_1616
; %bb.1613:
	v_cvt_f32_f64_e32 v2, v[0:1]
	s_movk_i32 s0, 0xff
	v_mov_b32_e32 v11, 0xff
	v_bfe_u32 v3, v2, 23, 8
	v_cmp_ne_u32_e32 vcc, s0, v3
	s_and_saveexec_b64 s[12:13], vcc
; %bb.1614:
	s_mov_b32 s0, 0x3fffff
	v_lshrrev_b32_e32 v11, 23, v2
	v_and_b32_e32 v14, 0x400000, v2
	v_and_or_b32 v2, v2, s0, v3
	v_cmp_ne_u32_e32 vcc, 0, v14
	v_cmp_ne_u32_e64 s[0:1], 0, v2
	s_and_b64 s[0:1], vcc, s[0:1]
	v_cndmask_b32_e64 v2, 0, 1, s[0:1]
	v_add_u32_e32 v11, v11, v2
; %bb.1615:
	s_or_b64 exec, exec, s[12:13]
	s_mov_b64 s[0:1], 0
	s_mov_b64 s[12:13], -1
	global_store_byte v[6:7], v11, off
.LBB8_1616:
	s_mov_b64 s[16:17], 0
.LBB8_1617:
	s_and_b64 vcc, exec, s[16:17]
	s_cbranch_vccz .LBB8_1620
; %bb.1618:
	s_cmp_eq_u32 s3, 29
	s_mov_b64 s[0:1], -1
	s_cbranch_scc0 .LBB8_1620
; %bb.1619:
	v_trunc_f64_e32 v[2:3], v[0:1]
	s_movk_i32 s0, 0xffe0
	s_mov_b64 s[12:13], -1
	v_ldexp_f64 v[14:15], v[2:3], s0
	s_mov_b32 s0, 0
	s_mov_b32 s1, 0xc1f00000
	v_floor_f64_e32 v[14:15], v[14:15]
	v_fma_f64 v[2:3], v[14:15], s[0:1], v[2:3]
	v_cvt_u32_f64_e32 v15, v[14:15]
	s_mov_b64 s[0:1], 0
	v_cvt_u32_f64_e32 v14, v[2:3]
	global_store_dwordx2 v[6:7], v[14:15], off
.LBB8_1620:
	s_mov_b64 s[16:17], 0
.LBB8_1621:
	s_and_b64 vcc, exec, s[16:17]
	s_cbranch_vccz .LBB8_1637
; %bb.1622:
	s_cmp_lt_i32 s3, 27
	s_mov_b64 s[12:13], -1
	s_cbranch_scc1 .LBB8_1628
; %bb.1623:
	v_cvt_u32_f64_e32 v2, v[0:1]
	s_cmp_gt_i32 s3, 27
	s_cbranch_scc0 .LBB8_1625
; %bb.1624:
	s_mov_b64 s[12:13], 0
	global_store_dword v[6:7], v2, off
.LBB8_1625:
	s_andn2_b64 vcc, exec, s[12:13]
	s_cbranch_vccnz .LBB8_1627
; %bb.1626:
	global_store_short v[6:7], v2, off
.LBB8_1627:
	s_mov_b64 s[12:13], 0
.LBB8_1628:
	s_andn2_b64 vcc, exec, s[12:13]
	s_cbranch_vccnz .LBB8_1636
; %bb.1629:
	v_cvt_f32_f64_e32 v2, v[0:1]
	s_mov_b32 s12, 0x43800000
	v_mov_b32_e32 v11, 0x80
	v_and_b32_e32 v3, 0x7fffffff, v2
	v_cmp_gt_u32_e32 vcc, s12, v3
	s_and_saveexec_b64 s[12:13], vcc
	s_cbranch_execz .LBB8_1635
; %bb.1630:
	s_mov_b32 s16, 0x3bffffff
	v_cmp_lt_u32_e32 vcc, s16, v3
	s_mov_b64 s[16:17], 0
                                        ; implicit-def: $vgpr3
	s_and_saveexec_b64 s[18:19], vcc
	s_xor_b64 s[18:19], exec, s[18:19]
	s_cbranch_execz .LBB8_2086
; %bb.1631:
	v_bfe_u32 v3, v2, 20, 1
	s_mov_b32 s21, 0x487ffff
	v_add3_u32 v3, v2, v3, s21
	s_mov_b64 s[16:17], exec
	v_lshrrev_b32_e32 v3, 20, v3
	s_andn2_saveexec_b64 s[18:19], s[18:19]
	s_cbranch_execnz .LBB8_2087
.LBB8_1632:
	s_or_b64 exec, exec, s[18:19]
	v_mov_b32_e32 v11, 0
	s_and_saveexec_b64 s[18:19], s[16:17]
.LBB8_1633:
	v_lshrrev_b32_e32 v2, 24, v2
	s_movk_i32 s16, 0x80
	v_and_or_b32 v11, v2, s16, v3
.LBB8_1634:
	s_or_b64 exec, exec, s[18:19]
.LBB8_1635:
	s_or_b64 exec, exec, s[12:13]
	global_store_byte v[6:7], v11, off
.LBB8_1636:
	s_mov_b64 s[12:13], -1
.LBB8_1637:
	s_mov_b64 s[16:17], 0
.LBB8_1638:
	s_and_b64 vcc, exec, s[16:17]
	s_cbranch_vccz .LBB8_1678
; %bb.1639:
	s_cmp_gt_i32 s3, 22
	s_mov_b64 s[10:11], -1
	s_cbranch_scc0 .LBB8_1671
; %bb.1640:
	s_cmp_lt_i32 s3, 24
	s_cbranch_scc1 .LBB8_1660
; %bb.1641:
	s_cmp_gt_i32 s3, 24
	s_cbranch_scc0 .LBB8_1649
; %bb.1642:
	v_cvt_f32_f64_e32 v2, v[0:1]
	s_mov_b32 s10, 0x47800000
	v_mov_b32_e32 v11, 0x80
	v_and_b32_e32 v3, 0x7fffffff, v2
	v_cmp_gt_u32_e32 vcc, s10, v3
	s_and_saveexec_b64 s[10:11], vcc
	s_cbranch_execz .LBB8_1648
; %bb.1643:
	s_mov_b32 s12, 0x37ffffff
	v_cmp_lt_u32_e32 vcc, s12, v3
	s_mov_b64 s[12:13], 0
                                        ; implicit-def: $vgpr3
	s_and_saveexec_b64 s[16:17], vcc
	s_xor_b64 s[16:17], exec, s[16:17]
	s_cbranch_execz .LBB8_2089
; %bb.1644:
	v_bfe_u32 v3, v2, 21, 1
	s_mov_b32 s18, 0x88fffff
	v_add3_u32 v3, v2, v3, s18
	s_mov_b64 s[12:13], exec
	v_lshrrev_b32_e32 v3, 21, v3
	s_andn2_saveexec_b64 s[16:17], s[16:17]
	s_cbranch_execnz .LBB8_2090
.LBB8_1645:
	s_or_b64 exec, exec, s[16:17]
	v_mov_b32_e32 v11, 0
	s_and_saveexec_b64 s[16:17], s[12:13]
.LBB8_1646:
	v_lshrrev_b32_e32 v2, 24, v2
	s_movk_i32 s12, 0x80
	v_and_or_b32 v11, v2, s12, v3
.LBB8_1647:
	s_or_b64 exec, exec, s[16:17]
.LBB8_1648:
	s_or_b64 exec, exec, s[10:11]
	s_mov_b64 s[10:11], 0
	global_store_byte v[6:7], v11, off
.LBB8_1649:
	s_and_b64 vcc, exec, s[10:11]
	s_cbranch_vccz .LBB8_1659
; %bb.1650:
	v_cvt_f32_f64_e32 v2, v[0:1]
	s_mov_b32 s10, 0x43f00000
                                        ; implicit-def: $vgpr3
	v_and_b32_e32 v11, 0x7fffffff, v2
	v_cmp_gt_u32_e32 vcc, s10, v11
	s_and_saveexec_b64 s[10:11], vcc
	s_xor_b64 s[10:11], exec, s[10:11]
	s_cbranch_execz .LBB8_1656
; %bb.1651:
	s_mov_b32 s12, 0x3c7fffff
	v_cmp_lt_u32_e32 vcc, s12, v11
                                        ; implicit-def: $vgpr3
	s_and_saveexec_b64 s[12:13], vcc
	s_xor_b64 s[12:13], exec, s[12:13]
; %bb.1652:
	v_bfe_u32 v3, v2, 20, 1
	s_mov_b32 s16, 0x407ffff
	v_add3_u32 v3, v2, v3, s16
	v_lshrrev_b32_e32 v11, 20, v3
	v_and_b32_e32 v3, 0xff00000, v3
	s_mov_b32 s16, 0x7f00000
	v_mov_b32_e32 v14, 0x7e
	v_cmp_ne_u32_e32 vcc, s16, v3
	v_cndmask_b32_e32 v3, v14, v11, vcc
; %bb.1653:
	s_andn2_saveexec_b64 s[12:13], s[12:13]
; %bb.1654:
	s_mov_b32 s16, 0x46800000
	v_add_f32_e64 v3, |v2|, s16
; %bb.1655:
	s_or_b64 exec, exec, s[12:13]
                                        ; implicit-def: $vgpr11
.LBB8_1656:
	s_andn2_saveexec_b64 s[10:11], s[10:11]
; %bb.1657:
	s_mov_b32 s12, 0x7f800000
	v_mov_b32_e32 v3, 0x7e
	v_mov_b32_e32 v14, 0x7f
	v_cmp_lt_u32_e32 vcc, s12, v11
	v_cndmask_b32_e32 v3, v3, v14, vcc
; %bb.1658:
	s_or_b64 exec, exec, s[10:11]
	v_lshrrev_b32_e32 v2, 24, v2
	s_movk_i32 s10, 0x80
	v_and_or_b32 v2, v2, s10, v3
	global_store_byte v[6:7], v2, off
.LBB8_1659:
	s_mov_b64 s[10:11], 0
.LBB8_1660:
	s_andn2_b64 vcc, exec, s[10:11]
	s_cbranch_vccnz .LBB8_1670
; %bb.1661:
	v_cvt_f32_f64_e32 v2, v[0:1]
	s_mov_b32 s10, 0x47800000
                                        ; implicit-def: $vgpr3
	v_and_b32_e32 v11, 0x7fffffff, v2
	v_cmp_gt_u32_e32 vcc, s10, v11
	s_and_saveexec_b64 s[10:11], vcc
	s_xor_b64 s[10:11], exec, s[10:11]
	s_cbranch_execz .LBB8_1667
; %bb.1662:
	s_mov_b32 s12, 0x387fffff
	v_cmp_lt_u32_e32 vcc, s12, v11
                                        ; implicit-def: $vgpr3
	s_and_saveexec_b64 s[12:13], vcc
	s_xor_b64 s[12:13], exec, s[12:13]
; %bb.1663:
	v_bfe_u32 v3, v2, 21, 1
	s_mov_b32 s16, 0x80fffff
	v_add3_u32 v3, v2, v3, s16
	v_lshrrev_b32_e32 v3, 21, v3
; %bb.1664:
	s_andn2_saveexec_b64 s[12:13], s[12:13]
; %bb.1665:
	s_mov_b32 s16, 0x43000000
	v_add_f32_e64 v3, |v2|, s16
; %bb.1666:
	s_or_b64 exec, exec, s[12:13]
                                        ; implicit-def: $vgpr11
.LBB8_1667:
	s_andn2_saveexec_b64 s[10:11], s[10:11]
; %bb.1668:
	s_mov_b32 s12, 0x7f800000
	v_mov_b32_e32 v3, 0x7c
	v_mov_b32_e32 v14, 0x7f
	v_cmp_lt_u32_e32 vcc, s12, v11
	v_cndmask_b32_e32 v3, v3, v14, vcc
; %bb.1669:
	s_or_b64 exec, exec, s[10:11]
	v_lshrrev_b32_e32 v2, 24, v2
	s_movk_i32 s10, 0x80
	v_and_or_b32 v2, v2, s10, v3
	global_store_byte v[6:7], v2, off
.LBB8_1670:
	s_mov_b64 s[10:11], 0
	s_mov_b64 s[12:13], -1
.LBB8_1671:
	s_andn2_b64 vcc, exec, s[10:11]
	s_mov_b64 s[10:11], 0
	s_cbranch_vccnz .LBB8_1678
; %bb.1672:
	s_cmp_gt_i32 s3, 14
	s_mov_b64 s[16:17], -1
	s_cbranch_scc0 .LBB8_1676
; %bb.1673:
	s_cmp_eq_u32 s3, 15
	s_mov_b64 s[0:1], -1
	s_cbranch_scc0 .LBB8_1675
; %bb.1674:
	v_cvt_f32_f64_e32 v2, v[0:1]
	s_movk_i32 s0, 0x7fff
	v_mov_b32_e32 v3, 0x7fc0
	s_mov_b64 s[12:13], -1
	v_bfe_u32 v11, v2, 16, 1
	v_cmp_o_f32_e32 vcc, v2, v2
	v_add3_u32 v2, v2, v11, s0
	v_cndmask_b32_sdwa v2, v3, v2, vcc dst_sel:DWORD dst_unused:UNUSED_PAD src0_sel:DWORD src1_sel:WORD_1
	global_store_short v[6:7], v2, off
	s_mov_b64 s[0:1], 0
.LBB8_1675:
	s_mov_b64 s[16:17], 0
.LBB8_1676:
	s_and_b64 vcc, exec, s[16:17]
	s_cbranch_vccz .LBB8_1678
; %bb.1677:
	s_cmp_lg_u32 s3, 11
	s_mov_b64 s[10:11], -1
	s_cselect_b64 s[0:1], -1, 0
.LBB8_1678:
	s_and_b64 vcc, exec, s[0:1]
	s_cbranch_vccnz .LBB8_2088
; %bb.1679:
	s_andn2_b64 vcc, exec, s[10:11]
	s_cbranch_vccnz .LBB8_1681
.LBB8_1680:
	v_cmp_neq_f64_e32 vcc, 0, v[0:1]
	s_mov_b64 s[12:13], -1
	v_cndmask_b32_e64 v2, 0, 1, vcc
	global_store_byte v[6:7], v2, off
.LBB8_1681:
	s_mov_b64 s[0:1], 0
	s_branch .LBB8_1729
.LBB8_1682:
	s_mov_b64 s[0:1], 0
                                        ; implicit-def: $sgpr20
                                        ; implicit-def: $vgpr0_vgpr1
                                        ; implicit-def: $vgpr12_vgpr13
.LBB8_1683:
	s_mov_b64 s[2:3], 0
.LBB8_1684:
	s_and_b64 s[12:13], s[2:3], exec
	s_andn2_b64 s[2:3], s[6:7], exec
	s_and_b64 s[6:7], s[14:15], exec
	s_and_b64 s[0:1], s[0:1], exec
	s_or_b64 s[6:7], s[2:3], s[6:7]
.LBB8_1685:
	s_or_b64 exec, exec, s[4:5]
	s_and_saveexec_b64 s[2:3], s[6:7]
	s_cbranch_execz .LBB8_1688
; %bb.1686:
	; divergent unreachable
	s_or_b64 exec, exec, s[2:3]
	s_and_saveexec_b64 s[2:3], s[12:13]
	s_xor_b64 s[2:3], exec, s[2:3]
	s_cbranch_execnz .LBB8_1689
.LBB8_1687:
	s_or_b64 exec, exec, s[2:3]
	s_and_saveexec_b64 s[2:3], s[0:1]
	s_cbranch_execnz .LBB8_1690
	s_branch .LBB8_1727
.LBB8_1688:
	s_or_b64 exec, exec, s[2:3]
	s_and_saveexec_b64 s[2:3], s[12:13]
	s_xor_b64 s[2:3], exec, s[2:3]
	s_cbranch_execz .LBB8_1687
.LBB8_1689:
	v_cmp_neq_f64_e32 vcc, 0, v[12:13]
	s_waitcnt vmcnt(0)
	v_cndmask_b32_e64 v2, 0, 1, vcc
	global_store_byte v[0:1], v2, off
	s_or_b64 exec, exec, s[2:3]
	s_and_saveexec_b64 s[2:3], s[0:1]
	s_cbranch_execz .LBB8_1727
.LBB8_1690:
	s_sext_i32_i16 s2, s20
	s_cmp_lt_i32 s2, 5
	s_mov_b64 s[0:1], -1
	s_cbranch_scc1 .LBB8_1711
; %bb.1691:
	s_cmp_lt_i32 s2, 8
	s_cbranch_scc1 .LBB8_1701
; %bb.1692:
	s_cmp_lt_i32 s2, 9
	s_cbranch_scc1 .LBB8_1698
; %bb.1693:
	s_cmp_gt_i32 s2, 9
	s_cbranch_scc0 .LBB8_1695
; %bb.1694:
	v_mov_b32_e32 v14, 0
	v_mov_b32_e32 v15, v14
	global_store_dwordx4 v[0:1], v[12:15], off
	s_mov_b64 s[0:1], 0
.LBB8_1695:
	s_andn2_b64 vcc, exec, s[0:1]
	s_cbranch_vccnz .LBB8_1697
; %bb.1696:
	s_waitcnt vmcnt(0)
	v_cvt_f32_f64_e32 v2, v[12:13]
	v_mov_b32_e32 v3, 0
	global_store_dwordx2 v[0:1], v[2:3], off
.LBB8_1697:
	s_mov_b64 s[0:1], 0
.LBB8_1698:
	s_andn2_b64 vcc, exec, s[0:1]
	s_cbranch_vccnz .LBB8_1700
; %bb.1699:
	s_movk_i32 s0, 0x1ff
	s_waitcnt vmcnt(0)
	v_and_or_b32 v2, v13, s0, v12
	v_cmp_ne_u32_e32 vcc, 0, v2
	v_cndmask_b32_e64 v2, 0, 1, vcc
	v_lshrrev_b32_e32 v3, 8, v13
	s_movk_i32 s0, 0xffe
	v_bfe_u32 v4, v13, 20, 11
	v_and_or_b32 v2, v3, s0, v2
	v_sub_u32_e32 v5, 0x3f1, v4
	v_or_b32_e32 v3, 0x1000, v2
	v_med3_i32 v5, v5, 0, 13
	v_lshrrev_b32_e32 v6, v5, v3
	v_lshlrev_b32_e32 v5, v5, v6
	v_cmp_ne_u32_e32 vcc, v5, v3
	v_cndmask_b32_e64 v3, 0, 1, vcc
	v_add_u32_e32 v4, 0xfffffc10, v4
	v_or_b32_e32 v3, v6, v3
	v_lshl_or_b32 v5, v4, 12, v2
	v_cmp_gt_i32_e32 vcc, 1, v4
	v_cndmask_b32_e32 v3, v5, v3, vcc
	v_and_b32_e32 v5, 7, v3
	v_cmp_lt_i32_e32 vcc, 5, v5
	v_cndmask_b32_e64 v6, 0, 1, vcc
	v_cmp_eq_u32_e32 vcc, 3, v5
	v_cndmask_b32_e64 v5, 0, 1, vcc
	v_or_b32_e32 v5, v5, v6
	v_lshrrev_b32_e32 v3, 2, v3
	v_add_u32_e32 v3, v3, v5
	v_mov_b32_e32 v5, 0x7c00
	v_cmp_gt_i32_e32 vcc, 31, v4
	v_cndmask_b32_e32 v3, v5, v3, vcc
	v_mov_b32_e32 v6, 0x7e00
	v_cmp_ne_u32_e32 vcc, 0, v2
	s_movk_i32 s0, 0x40f
	v_cndmask_b32_e32 v2, v5, v6, vcc
	v_cmp_eq_u32_e32 vcc, s0, v4
	v_cndmask_b32_e32 v2, v3, v2, vcc
	v_lshrrev_b32_e32 v3, 16, v13
	s_mov_b32 s0, 0x8000
	v_and_or_b32 v2, v3, s0, v2
	v_and_b32_e32 v2, 0xffff, v2
	global_store_dword v[0:1], v2, off
.LBB8_1700:
	s_mov_b64 s[0:1], 0
.LBB8_1701:
	s_andn2_b64 vcc, exec, s[0:1]
	s_cbranch_vccnz .LBB8_1710
; %bb.1702:
	s_sext_i32_i16 s2, s20
	s_cmp_lt_i32 s2, 6
	s_mov_b64 s[0:1], -1
	s_cbranch_scc1 .LBB8_1708
; %bb.1703:
	s_cmp_gt_i32 s2, 6
	s_cbranch_scc0 .LBB8_1705
; %bb.1704:
	global_store_dwordx2 v[0:1], v[12:13], off
	s_mov_b64 s[0:1], 0
.LBB8_1705:
	s_andn2_b64 vcc, exec, s[0:1]
	s_cbranch_vccnz .LBB8_1707
; %bb.1706:
	s_waitcnt vmcnt(0)
	v_cvt_f32_f64_e32 v2, v[12:13]
	global_store_dword v[0:1], v2, off
.LBB8_1707:
	s_mov_b64 s[0:1], 0
.LBB8_1708:
	s_andn2_b64 vcc, exec, s[0:1]
	s_cbranch_vccnz .LBB8_1710
; %bb.1709:
	s_movk_i32 s0, 0x1ff
	s_waitcnt vmcnt(0)
	v_and_or_b32 v2, v13, s0, v12
	v_cmp_ne_u32_e32 vcc, 0, v2
	v_cndmask_b32_e64 v2, 0, 1, vcc
	v_lshrrev_b32_e32 v3, 8, v13
	s_movk_i32 s0, 0xffe
	v_bfe_u32 v4, v13, 20, 11
	v_and_or_b32 v2, v3, s0, v2
	v_sub_u32_e32 v5, 0x3f1, v4
	v_or_b32_e32 v3, 0x1000, v2
	v_med3_i32 v5, v5, 0, 13
	v_lshrrev_b32_e32 v6, v5, v3
	v_lshlrev_b32_e32 v5, v5, v6
	v_cmp_ne_u32_e32 vcc, v5, v3
	v_cndmask_b32_e64 v3, 0, 1, vcc
	v_add_u32_e32 v4, 0xfffffc10, v4
	v_or_b32_e32 v3, v6, v3
	v_lshl_or_b32 v5, v4, 12, v2
	v_cmp_gt_i32_e32 vcc, 1, v4
	v_cndmask_b32_e32 v3, v5, v3, vcc
	v_and_b32_e32 v5, 7, v3
	v_cmp_lt_i32_e32 vcc, 5, v5
	v_cndmask_b32_e64 v6, 0, 1, vcc
	v_cmp_eq_u32_e32 vcc, 3, v5
	v_cndmask_b32_e64 v5, 0, 1, vcc
	v_or_b32_e32 v5, v5, v6
	v_lshrrev_b32_e32 v3, 2, v3
	v_add_u32_e32 v3, v3, v5
	v_mov_b32_e32 v5, 0x7c00
	v_cmp_gt_i32_e32 vcc, 31, v4
	v_cndmask_b32_e32 v3, v5, v3, vcc
	v_mov_b32_e32 v6, 0x7e00
	v_cmp_ne_u32_e32 vcc, 0, v2
	s_movk_i32 s0, 0x40f
	v_cndmask_b32_e32 v2, v5, v6, vcc
	v_cmp_eq_u32_e32 vcc, s0, v4
	v_cndmask_b32_e32 v2, v3, v2, vcc
	v_lshrrev_b32_e32 v3, 16, v13
	s_mov_b32 s0, 0x8000
	v_and_or_b32 v2, v3, s0, v2
	global_store_short v[0:1], v2, off
.LBB8_1710:
	s_mov_b64 s[0:1], 0
.LBB8_1711:
	s_andn2_b64 vcc, exec, s[0:1]
	s_cbranch_vccnz .LBB8_1727
; %bb.1712:
	s_sext_i32_i16 s2, s20
	s_cmp_lt_i32 s2, 2
	s_mov_b64 s[0:1], -1
	s_cbranch_scc1 .LBB8_1722
; %bb.1713:
	s_cmp_lt_i32 s2, 3
	s_cbranch_scc1 .LBB8_1719
; %bb.1714:
	s_cmp_gt_i32 s2, 3
	s_cbranch_scc0 .LBB8_1716
; %bb.1715:
	s_waitcnt vmcnt(0)
	v_trunc_f64_e32 v[2:3], v[12:13]
	s_movk_i32 s0, 0xffe0
	v_ldexp_f64 v[4:5], v[2:3], s0
	s_mov_b32 s0, 0
	s_mov_b32 s1, 0xc1f00000
	v_floor_f64_e32 v[4:5], v[4:5]
	v_fma_f64 v[2:3], v[4:5], s[0:1], v[2:3]
	v_cvt_i32_f64_e32 v4, v[4:5]
	s_mov_b64 s[0:1], 0
	v_cvt_u32_f64_e32 v3, v[2:3]
	global_store_dwordx2 v[0:1], v[3:4], off
.LBB8_1716:
	s_andn2_b64 vcc, exec, s[0:1]
	s_cbranch_vccnz .LBB8_1718
; %bb.1717:
	s_waitcnt vmcnt(0)
	v_cvt_i32_f64_e32 v2, v[12:13]
	global_store_dword v[0:1], v2, off
.LBB8_1718:
	s_mov_b64 s[0:1], 0
.LBB8_1719:
	s_andn2_b64 vcc, exec, s[0:1]
	s_cbranch_vccnz .LBB8_1721
; %bb.1720:
	s_waitcnt vmcnt(0)
	v_cvt_i32_f64_e32 v2, v[12:13]
	global_store_short v[0:1], v2, off
.LBB8_1721:
	s_mov_b64 s[0:1], 0
.LBB8_1722:
	s_andn2_b64 vcc, exec, s[0:1]
	s_cbranch_vccnz .LBB8_1727
; %bb.1723:
	s_sext_i32_i16 s0, s20
	s_cmp_gt_i32 s0, 0
	s_mov_b64 s[0:1], -1
	s_cbranch_scc0 .LBB8_1725
; %bb.1724:
	s_waitcnt vmcnt(0)
	v_cvt_i32_f64_e32 v2, v[12:13]
	s_mov_b64 s[0:1], 0
	global_store_byte v[0:1], v2, off
.LBB8_1725:
	s_andn2_b64 vcc, exec, s[0:1]
	s_cbranch_vccnz .LBB8_1727
; %bb.1726:
	s_waitcnt vmcnt(0)
	v_trunc_f64_e32 v[2:3], v[12:13]
	s_movk_i32 s0, 0xffe0
	v_ldexp_f64 v[4:5], v[2:3], s0
	s_mov_b32 s0, 0
	s_mov_b32 s1, 0xc1f00000
	v_floor_f64_e32 v[4:5], v[4:5]
	v_fma_f64 v[2:3], v[4:5], s[0:1], v[2:3]
	v_cvt_u32_f64_e32 v2, v[2:3]
	global_store_byte v[0:1], v2, off
	s_endpgm
.LBB8_1727:
	s_endpgm
.LBB8_1728:
	s_mov_b64 s[0:1], -1
	s_mov_b64 s[12:13], 0
.LBB8_1729:
	s_and_b64 vcc, exec, s[0:1]
	s_cbranch_vccz .LBB8_1768
; %bb.1730:
	s_and_b32 s3, 0xffff, s20
	s_cmp_lt_i32 s3, 5
	s_mov_b64 s[0:1], -1
	s_cbranch_scc1 .LBB8_1751
; %bb.1731:
	s_cmp_lt_i32 s3, 8
	s_cbranch_scc1 .LBB8_1741
; %bb.1732:
	s_cmp_lt_i32 s3, 9
	s_cbranch_scc1 .LBB8_1738
; %bb.1733:
	s_cmp_gt_i32 s3, 9
	s_cbranch_scc0 .LBB8_1735
; %bb.1734:
	v_mov_b32_e32 v2, 0
	v_mov_b32_e32 v3, v2
	global_store_dwordx4 v[6:7], v[0:3], off
	s_mov_b64 s[0:1], 0
.LBB8_1735:
	s_andn2_b64 vcc, exec, s[0:1]
	s_cbranch_vccnz .LBB8_1737
; %bb.1736:
	v_cvt_f32_f64_e32 v2, v[0:1]
	v_mov_b32_e32 v3, 0
	global_store_dwordx2 v[6:7], v[2:3], off
.LBB8_1737:
	s_mov_b64 s[0:1], 0
.LBB8_1738:
	s_andn2_b64 vcc, exec, s[0:1]
	s_cbranch_vccnz .LBB8_1740
; %bb.1739:
	s_movk_i32 s0, 0x1ff
	v_and_or_b32 v2, v1, s0, v0
	v_cmp_ne_u32_e32 vcc, 0, v2
	v_cndmask_b32_e64 v2, 0, 1, vcc
	v_lshrrev_b32_e32 v3, 8, v1
	s_movk_i32 s0, 0xffe
	v_bfe_u32 v11, v1, 20, 11
	v_and_or_b32 v2, v3, s0, v2
	v_sub_u32_e32 v14, 0x3f1, v11
	v_or_b32_e32 v3, 0x1000, v2
	v_med3_i32 v14, v14, 0, 13
	v_lshrrev_b32_e32 v15, v14, v3
	v_lshlrev_b32_e32 v14, v14, v15
	v_cmp_ne_u32_e32 vcc, v14, v3
	v_cndmask_b32_e64 v3, 0, 1, vcc
	v_add_u32_e32 v11, 0xfffffc10, v11
	v_or_b32_e32 v3, v15, v3
	v_lshl_or_b32 v14, v11, 12, v2
	v_cmp_gt_i32_e32 vcc, 1, v11
	v_cndmask_b32_e32 v3, v14, v3, vcc
	v_and_b32_e32 v14, 7, v3
	v_cmp_lt_i32_e32 vcc, 5, v14
	v_cndmask_b32_e64 v15, 0, 1, vcc
	v_cmp_eq_u32_e32 vcc, 3, v14
	v_cndmask_b32_e64 v14, 0, 1, vcc
	v_or_b32_e32 v14, v14, v15
	v_lshrrev_b32_e32 v3, 2, v3
	v_add_u32_e32 v3, v3, v14
	v_mov_b32_e32 v14, 0x7c00
	v_cmp_gt_i32_e32 vcc, 31, v11
	v_cndmask_b32_e32 v3, v14, v3, vcc
	v_mov_b32_e32 v15, 0x7e00
	v_cmp_ne_u32_e32 vcc, 0, v2
	s_movk_i32 s0, 0x40f
	v_cndmask_b32_e32 v2, v14, v15, vcc
	v_cmp_eq_u32_e32 vcc, s0, v11
	v_cndmask_b32_e32 v2, v3, v2, vcc
	v_lshrrev_b32_e32 v3, 16, v1
	s_mov_b32 s0, 0x8000
	v_and_or_b32 v2, v3, s0, v2
	v_and_b32_e32 v2, 0xffff, v2
	global_store_dword v[6:7], v2, off
.LBB8_1740:
	s_mov_b64 s[0:1], 0
.LBB8_1741:
	s_andn2_b64 vcc, exec, s[0:1]
	s_cbranch_vccnz .LBB8_1750
; %bb.1742:
	s_cmp_lt_i32 s3, 6
	s_mov_b64 s[0:1], -1
	s_cbranch_scc1 .LBB8_1748
; %bb.1743:
	s_cmp_gt_i32 s3, 6
	s_cbranch_scc0 .LBB8_1745
; %bb.1744:
	global_store_dwordx2 v[6:7], v[0:1], off
	s_mov_b64 s[0:1], 0
.LBB8_1745:
	s_andn2_b64 vcc, exec, s[0:1]
	s_cbranch_vccnz .LBB8_1747
; %bb.1746:
	v_cvt_f32_f64_e32 v2, v[0:1]
	global_store_dword v[6:7], v2, off
.LBB8_1747:
	s_mov_b64 s[0:1], 0
.LBB8_1748:
	s_andn2_b64 vcc, exec, s[0:1]
	s_cbranch_vccnz .LBB8_1750
; %bb.1749:
	s_movk_i32 s0, 0x1ff
	v_and_or_b32 v2, v1, s0, v0
	v_cmp_ne_u32_e32 vcc, 0, v2
	v_cndmask_b32_e64 v2, 0, 1, vcc
	v_lshrrev_b32_e32 v3, 8, v1
	s_movk_i32 s0, 0xffe
	v_bfe_u32 v11, v1, 20, 11
	v_and_or_b32 v2, v3, s0, v2
	v_sub_u32_e32 v14, 0x3f1, v11
	v_or_b32_e32 v3, 0x1000, v2
	v_med3_i32 v14, v14, 0, 13
	v_lshrrev_b32_e32 v15, v14, v3
	v_lshlrev_b32_e32 v14, v14, v15
	v_cmp_ne_u32_e32 vcc, v14, v3
	v_cndmask_b32_e64 v3, 0, 1, vcc
	v_add_u32_e32 v11, 0xfffffc10, v11
	v_or_b32_e32 v3, v15, v3
	v_lshl_or_b32 v14, v11, 12, v2
	v_cmp_gt_i32_e32 vcc, 1, v11
	v_cndmask_b32_e32 v3, v14, v3, vcc
	v_and_b32_e32 v14, 7, v3
	v_cmp_lt_i32_e32 vcc, 5, v14
	v_cndmask_b32_e64 v15, 0, 1, vcc
	v_cmp_eq_u32_e32 vcc, 3, v14
	v_cndmask_b32_e64 v14, 0, 1, vcc
	v_or_b32_e32 v14, v14, v15
	v_lshrrev_b32_e32 v3, 2, v3
	v_add_u32_e32 v3, v3, v14
	v_mov_b32_e32 v14, 0x7c00
	v_cmp_gt_i32_e32 vcc, 31, v11
	v_cndmask_b32_e32 v3, v14, v3, vcc
	v_mov_b32_e32 v15, 0x7e00
	v_cmp_ne_u32_e32 vcc, 0, v2
	s_movk_i32 s0, 0x40f
	v_cndmask_b32_e32 v2, v14, v15, vcc
	v_cmp_eq_u32_e32 vcc, s0, v11
	v_cndmask_b32_e32 v2, v3, v2, vcc
	v_lshrrev_b32_e32 v3, 16, v1
	s_mov_b32 s0, 0x8000
	v_and_or_b32 v2, v3, s0, v2
	global_store_short v[6:7], v2, off
.LBB8_1750:
	s_mov_b64 s[0:1], 0
.LBB8_1751:
	s_andn2_b64 vcc, exec, s[0:1]
	s_cbranch_vccnz .LBB8_1767
; %bb.1752:
	s_cmp_lt_i32 s3, 2
	s_mov_b64 s[0:1], -1
	s_cbranch_scc1 .LBB8_1762
; %bb.1753:
	s_cmp_lt_i32 s3, 3
	s_cbranch_scc1 .LBB8_1759
; %bb.1754:
	s_cmp_gt_i32 s3, 3
	s_cbranch_scc0 .LBB8_1756
; %bb.1755:
	v_trunc_f64_e32 v[2:3], v[0:1]
	s_movk_i32 s0, 0xffe0
	v_ldexp_f64 v[14:15], v[2:3], s0
	s_mov_b32 s0, 0
	s_mov_b32 s1, 0xc1f00000
	v_floor_f64_e32 v[14:15], v[14:15]
	v_fma_f64 v[2:3], v[14:15], s[0:1], v[2:3]
	v_cvt_i32_f64_e32 v15, v[14:15]
	s_mov_b64 s[0:1], 0
	v_cvt_u32_f64_e32 v14, v[2:3]
	global_store_dwordx2 v[6:7], v[14:15], off
.LBB8_1756:
	s_andn2_b64 vcc, exec, s[0:1]
	s_cbranch_vccnz .LBB8_1758
; %bb.1757:
	v_cvt_i32_f64_e32 v2, v[0:1]
	global_store_dword v[6:7], v2, off
.LBB8_1758:
	s_mov_b64 s[0:1], 0
.LBB8_1759:
	s_andn2_b64 vcc, exec, s[0:1]
	s_cbranch_vccnz .LBB8_1761
; %bb.1760:
	v_cvt_i32_f64_e32 v2, v[0:1]
	global_store_short v[6:7], v2, off
.LBB8_1761:
	s_mov_b64 s[0:1], 0
.LBB8_1762:
	s_andn2_b64 vcc, exec, s[0:1]
	s_cbranch_vccnz .LBB8_1767
; %bb.1763:
	s_cmp_gt_i32 s3, 0
	s_mov_b64 s[0:1], -1
	s_cbranch_scc0 .LBB8_1765
; %bb.1764:
	v_cvt_i32_f64_e32 v2, v[0:1]
	s_mov_b64 s[0:1], 0
	global_store_byte v[6:7], v2, off
.LBB8_1765:
	s_andn2_b64 vcc, exec, s[0:1]
	s_cbranch_vccnz .LBB8_1767
; %bb.1766:
	v_trunc_f64_e32 v[0:1], v[0:1]
	s_movk_i32 s0, 0xffe0
	v_ldexp_f64 v[2:3], v[0:1], s0
	s_mov_b32 s0, 0
	s_mov_b32 s1, 0xc1f00000
	v_floor_f64_e32 v[2:3], v[2:3]
	v_fma_f64 v[0:1], v[2:3], s[0:1], v[0:1]
	v_cvt_u32_f64_e32 v0, v[0:1]
	global_store_byte v[6:7], v0, off
.LBB8_1767:
	s_mov_b64 s[12:13], -1
.LBB8_1768:
	s_andn2_b64 vcc, exec, s[12:13]
	s_cbranch_vccnz .LBB8_2083
; %bb.1769:
	s_lshl_b32 s18, s2, 7
	v_add_u32_e32 v2, s18, v10
	v_ashrrev_i32_e32 v1, 31, v2
	v_mov_b32_e32 v3, s9
	v_add_co_u32_e32 v0, vcc, s8, v2
	s_cmp_lt_i32 s20, 11
	v_addc_co_u32_e32 v1, vcc, v3, v1, vcc
	s_cbranch_scc1 .LBB8_1847
; %bb.1770:
	s_and_b32 s19, 0xffff, s20
	s_mov_b64 s[12:13], -1
	s_mov_b64 s[2:3], 0
	s_cmp_gt_i32 s19, 25
	s_mov_b64 s[10:11], 0
	s_mov_b64 s[0:1], 0
	s_cbranch_scc0 .LBB8_1803
; %bb.1771:
	s_cmp_gt_i32 s19, 28
	s_cbranch_scc0 .LBB8_1786
; %bb.1772:
	s_cmp_gt_i32 s19, 43
	;; [unrolled: 3-line block ×3, first 2 shown]
	s_cbranch_scc0 .LBB8_1776
; %bb.1774:
	s_mov_b64 s[0:1], -1
	s_mov_b64 s[12:13], 0
	s_cmp_eq_u32 s19, 46
	s_cbranch_scc0 .LBB8_1776
; %bb.1775:
	v_cvt_f32_f64_e32 v3, v[4:5]
	s_movk_i32 s0, 0x7fff
	v_mov_b32_e32 v6, 0x7fc0
	s_mov_b64 s[10:11], -1
	v_bfe_u32 v7, v3, 16, 1
	v_cmp_o_f32_e32 vcc, v3, v3
	v_add3_u32 v3, v3, v7, s0
	v_cndmask_b32_sdwa v3, v6, v3, vcc dst_sel:DWORD dst_unused:UNUSED_PAD src0_sel:DWORD src1_sel:WORD_1
	global_store_dword v[0:1], v3, off
	s_mov_b64 s[0:1], 0
.LBB8_1776:
	s_and_b64 vcc, exec, s[12:13]
	s_cbranch_vccz .LBB8_1781
; %bb.1777:
	s_cmp_eq_u32 s19, 44
	s_mov_b64 s[0:1], -1
	s_cbranch_scc0 .LBB8_1781
; %bb.1778:
	v_cvt_f32_f64_e32 v3, v[4:5]
	s_movk_i32 s0, 0xff
	v_mov_b32_e32 v7, 0xff
	v_bfe_u32 v6, v3, 23, 8
	v_cmp_ne_u32_e32 vcc, s0, v6
	s_and_saveexec_b64 s[10:11], vcc
; %bb.1779:
	s_mov_b32 s0, 0x3fffff
	v_lshrrev_b32_e32 v7, 23, v3
	v_and_b32_e32 v10, 0x400000, v3
	v_and_or_b32 v3, v3, s0, v6
	v_cmp_ne_u32_e32 vcc, 0, v10
	v_cmp_ne_u32_e64 s[0:1], 0, v3
	s_and_b64 s[0:1], vcc, s[0:1]
	v_cndmask_b32_e64 v3, 0, 1, s[0:1]
	v_add_u32_e32 v7, v7, v3
; %bb.1780:
	s_or_b64 exec, exec, s[10:11]
	s_mov_b64 s[0:1], 0
	s_mov_b64 s[10:11], -1
	global_store_byte v[0:1], v7, off
.LBB8_1781:
	s_mov_b64 s[12:13], 0
.LBB8_1782:
	s_and_b64 vcc, exec, s[12:13]
	s_cbranch_vccz .LBB8_1785
; %bb.1783:
	s_cmp_eq_u32 s19, 29
	s_mov_b64 s[0:1], -1
	s_cbranch_scc0 .LBB8_1785
; %bb.1784:
	v_trunc_f64_e32 v[6:7], v[4:5]
	s_movk_i32 s0, 0xffe0
	s_mov_b64 s[10:11], -1
	v_ldexp_f64 v[10:11], v[6:7], s0
	s_mov_b32 s0, 0
	s_mov_b32 s1, 0xc1f00000
	v_floor_f64_e32 v[10:11], v[10:11]
	v_fma_f64 v[6:7], v[10:11], s[0:1], v[6:7]
	v_cvt_u32_f64_e32 v11, v[10:11]
	s_mov_b64 s[0:1], 0
	v_cvt_u32_f64_e32 v10, v[6:7]
	global_store_dwordx2 v[0:1], v[10:11], off
.LBB8_1785:
	s_mov_b64 s[12:13], 0
.LBB8_1786:
	s_and_b64 vcc, exec, s[12:13]
	s_cbranch_vccz .LBB8_1802
; %bb.1787:
	s_cmp_lt_i32 s19, 27
	s_mov_b64 s[10:11], -1
	s_cbranch_scc1 .LBB8_1793
; %bb.1788:
	v_cvt_u32_f64_e32 v3, v[4:5]
	s_cmp_gt_i32 s19, 27
	s_cbranch_scc0 .LBB8_1790
; %bb.1789:
	s_mov_b64 s[10:11], 0
	global_store_dword v[0:1], v3, off
.LBB8_1790:
	s_andn2_b64 vcc, exec, s[10:11]
	s_cbranch_vccnz .LBB8_1792
; %bb.1791:
	global_store_short v[0:1], v3, off
.LBB8_1792:
	s_mov_b64 s[10:11], 0
.LBB8_1793:
	s_andn2_b64 vcc, exec, s[10:11]
	s_cbranch_vccnz .LBB8_1801
; %bb.1794:
	v_cvt_f32_f64_e32 v3, v[4:5]
	s_mov_b32 s10, 0x43800000
	v_mov_b32_e32 v7, 0x80
	v_and_b32_e32 v6, 0x7fffffff, v3
	v_cmp_gt_u32_e32 vcc, s10, v6
	s_and_saveexec_b64 s[10:11], vcc
	s_cbranch_execz .LBB8_1800
; %bb.1795:
	s_mov_b32 s12, 0x3bffffff
	v_cmp_lt_u32_e32 vcc, s12, v6
	s_mov_b64 s[12:13], 0
                                        ; implicit-def: $vgpr6
	s_and_saveexec_b64 s[16:17], vcc
	s_xor_b64 s[16:17], exec, s[16:17]
	s_cbranch_execz .LBB8_2091
; %bb.1796:
	v_bfe_u32 v6, v3, 20, 1
	s_mov_b32 s21, 0x487ffff
	v_add3_u32 v6, v3, v6, s21
	s_mov_b64 s[12:13], exec
	v_lshrrev_b32_e32 v6, 20, v6
	s_andn2_saveexec_b64 s[16:17], s[16:17]
	s_cbranch_execnz .LBB8_2092
.LBB8_1797:
	s_or_b64 exec, exec, s[16:17]
	v_mov_b32_e32 v7, 0
	s_and_saveexec_b64 s[16:17], s[12:13]
.LBB8_1798:
	v_lshrrev_b32_e32 v3, 24, v3
	s_movk_i32 s12, 0x80
	v_and_or_b32 v7, v3, s12, v6
.LBB8_1799:
	s_or_b64 exec, exec, s[16:17]
.LBB8_1800:
	s_or_b64 exec, exec, s[10:11]
	global_store_byte v[0:1], v7, off
.LBB8_1801:
	s_mov_b64 s[10:11], -1
.LBB8_1802:
	s_mov_b64 s[12:13], 0
.LBB8_1803:
	s_and_b64 vcc, exec, s[12:13]
	s_cbranch_vccz .LBB8_1843
; %bb.1804:
	s_cmp_gt_i32 s19, 22
	s_mov_b64 s[2:3], -1
	s_cbranch_scc0 .LBB8_1836
; %bb.1805:
	s_cmp_lt_i32 s19, 24
	s_cbranch_scc1 .LBB8_1825
; %bb.1806:
	s_cmp_gt_i32 s19, 24
	s_cbranch_scc0 .LBB8_1814
; %bb.1807:
	v_cvt_f32_f64_e32 v3, v[4:5]
	s_mov_b32 s2, 0x47800000
	v_mov_b32_e32 v7, 0x80
	v_and_b32_e32 v6, 0x7fffffff, v3
	v_cmp_gt_u32_e32 vcc, s2, v6
	s_and_saveexec_b64 s[2:3], vcc
	s_cbranch_execz .LBB8_1813
; %bb.1808:
	s_mov_b32 s10, 0x37ffffff
	v_cmp_lt_u32_e32 vcc, s10, v6
	s_mov_b64 s[10:11], 0
                                        ; implicit-def: $vgpr6
	s_and_saveexec_b64 s[12:13], vcc
	s_xor_b64 s[12:13], exec, s[12:13]
	s_cbranch_execz .LBB8_2094
; %bb.1809:
	v_bfe_u32 v6, v3, 21, 1
	s_mov_b32 s16, 0x88fffff
	v_add3_u32 v6, v3, v6, s16
	s_mov_b64 s[10:11], exec
	v_lshrrev_b32_e32 v6, 21, v6
	s_andn2_saveexec_b64 s[12:13], s[12:13]
	s_cbranch_execnz .LBB8_2095
.LBB8_1810:
	s_or_b64 exec, exec, s[12:13]
	v_mov_b32_e32 v7, 0
	s_and_saveexec_b64 s[12:13], s[10:11]
.LBB8_1811:
	v_lshrrev_b32_e32 v3, 24, v3
	s_movk_i32 s10, 0x80
	v_and_or_b32 v7, v3, s10, v6
.LBB8_1812:
	s_or_b64 exec, exec, s[12:13]
.LBB8_1813:
	s_or_b64 exec, exec, s[2:3]
	s_mov_b64 s[2:3], 0
	global_store_byte v[0:1], v7, off
.LBB8_1814:
	s_and_b64 vcc, exec, s[2:3]
	s_cbranch_vccz .LBB8_1824
; %bb.1815:
	v_cvt_f32_f64_e32 v3, v[4:5]
	s_mov_b32 s2, 0x43f00000
                                        ; implicit-def: $vgpr6
	v_and_b32_e32 v7, 0x7fffffff, v3
	v_cmp_gt_u32_e32 vcc, s2, v7
	s_and_saveexec_b64 s[2:3], vcc
	s_xor_b64 s[2:3], exec, s[2:3]
	s_cbranch_execz .LBB8_1821
; %bb.1816:
	s_mov_b32 s10, 0x3c7fffff
	v_cmp_lt_u32_e32 vcc, s10, v7
                                        ; implicit-def: $vgpr6
	s_and_saveexec_b64 s[10:11], vcc
	s_xor_b64 s[10:11], exec, s[10:11]
; %bb.1817:
	v_bfe_u32 v6, v3, 20, 1
	s_mov_b32 s12, 0x407ffff
	v_add3_u32 v6, v3, v6, s12
	v_lshrrev_b32_e32 v7, 20, v6
	v_and_b32_e32 v6, 0xff00000, v6
	s_mov_b32 s12, 0x7f00000
	v_mov_b32_e32 v10, 0x7e
	v_cmp_ne_u32_e32 vcc, s12, v6
	v_cndmask_b32_e32 v6, v10, v7, vcc
; %bb.1818:
	s_andn2_saveexec_b64 s[10:11], s[10:11]
; %bb.1819:
	s_mov_b32 s12, 0x46800000
	v_add_f32_e64 v6, |v3|, s12
; %bb.1820:
	s_or_b64 exec, exec, s[10:11]
                                        ; implicit-def: $vgpr7
.LBB8_1821:
	s_andn2_saveexec_b64 s[2:3], s[2:3]
; %bb.1822:
	s_mov_b32 s10, 0x7f800000
	v_mov_b32_e32 v6, 0x7e
	v_mov_b32_e32 v10, 0x7f
	v_cmp_lt_u32_e32 vcc, s10, v7
	v_cndmask_b32_e32 v6, v6, v10, vcc
; %bb.1823:
	s_or_b64 exec, exec, s[2:3]
	v_lshrrev_b32_e32 v3, 24, v3
	s_movk_i32 s2, 0x80
	v_and_or_b32 v3, v3, s2, v6
	global_store_byte v[0:1], v3, off
.LBB8_1824:
	s_mov_b64 s[2:3], 0
.LBB8_1825:
	s_andn2_b64 vcc, exec, s[2:3]
	s_cbranch_vccnz .LBB8_1835
; %bb.1826:
	v_cvt_f32_f64_e32 v3, v[4:5]
	s_mov_b32 s2, 0x47800000
                                        ; implicit-def: $vgpr6
	v_and_b32_e32 v7, 0x7fffffff, v3
	v_cmp_gt_u32_e32 vcc, s2, v7
	s_and_saveexec_b64 s[2:3], vcc
	s_xor_b64 s[2:3], exec, s[2:3]
	s_cbranch_execz .LBB8_1832
; %bb.1827:
	s_mov_b32 s10, 0x387fffff
	v_cmp_lt_u32_e32 vcc, s10, v7
                                        ; implicit-def: $vgpr6
	s_and_saveexec_b64 s[10:11], vcc
	s_xor_b64 s[10:11], exec, s[10:11]
; %bb.1828:
	v_bfe_u32 v6, v3, 21, 1
	s_mov_b32 s12, 0x80fffff
	v_add3_u32 v6, v3, v6, s12
	v_lshrrev_b32_e32 v6, 21, v6
; %bb.1829:
	s_andn2_saveexec_b64 s[10:11], s[10:11]
; %bb.1830:
	s_mov_b32 s12, 0x43000000
	v_add_f32_e64 v6, |v3|, s12
; %bb.1831:
	s_or_b64 exec, exec, s[10:11]
                                        ; implicit-def: $vgpr7
.LBB8_1832:
	s_andn2_saveexec_b64 s[2:3], s[2:3]
; %bb.1833:
	s_mov_b32 s10, 0x7f800000
	v_mov_b32_e32 v6, 0x7c
	v_mov_b32_e32 v10, 0x7f
	v_cmp_lt_u32_e32 vcc, s10, v7
	v_cndmask_b32_e32 v6, v6, v10, vcc
; %bb.1834:
	s_or_b64 exec, exec, s[2:3]
	v_lshrrev_b32_e32 v3, 24, v3
	s_movk_i32 s2, 0x80
	v_and_or_b32 v3, v3, s2, v6
	global_store_byte v[0:1], v3, off
.LBB8_1835:
	s_mov_b64 s[2:3], 0
	s_mov_b64 s[10:11], -1
.LBB8_1836:
	s_andn2_b64 vcc, exec, s[2:3]
	s_mov_b64 s[2:3], 0
	s_cbranch_vccnz .LBB8_1843
; %bb.1837:
	s_cmp_gt_i32 s19, 14
	s_mov_b64 s[12:13], -1
	s_cbranch_scc0 .LBB8_1841
; %bb.1838:
	s_cmp_eq_u32 s19, 15
	s_mov_b64 s[0:1], -1
	s_cbranch_scc0 .LBB8_1840
; %bb.1839:
	v_cvt_f32_f64_e32 v3, v[4:5]
	s_movk_i32 s0, 0x7fff
	v_mov_b32_e32 v6, 0x7fc0
	s_mov_b64 s[10:11], -1
	v_bfe_u32 v7, v3, 16, 1
	v_cmp_o_f32_e32 vcc, v3, v3
	v_add3_u32 v3, v3, v7, s0
	v_cndmask_b32_sdwa v3, v6, v3, vcc dst_sel:DWORD dst_unused:UNUSED_PAD src0_sel:DWORD src1_sel:WORD_1
	global_store_short v[0:1], v3, off
	s_mov_b64 s[0:1], 0
.LBB8_1840:
	s_mov_b64 s[12:13], 0
.LBB8_1841:
	s_and_b64 vcc, exec, s[12:13]
	s_cbranch_vccz .LBB8_1843
; %bb.1842:
	s_cmp_lg_u32 s19, 11
	s_mov_b64 s[2:3], -1
	s_cselect_b64 s[0:1], -1, 0
.LBB8_1843:
	s_and_b64 vcc, exec, s[0:1]
	s_cbranch_vccnz .LBB8_2093
; %bb.1844:
	s_andn2_b64 vcc, exec, s[2:3]
	s_cbranch_vccnz .LBB8_1846
.LBB8_1845:
	v_cmp_neq_f64_e32 vcc, 0, v[4:5]
	s_mov_b64 s[10:11], -1
	v_cndmask_b32_e64 v3, 0, 1, vcc
	global_store_byte v[0:1], v3, off
.LBB8_1846:
	s_mov_b64 s[0:1], 0
	s_branch .LBB8_1848
.LBB8_1847:
	s_mov_b64 s[0:1], -1
	s_mov_b64 s[10:11], 0
.LBB8_1848:
	s_and_b64 vcc, exec, s[0:1]
	s_cbranch_vccz .LBB8_1887
; %bb.1849:
	s_and_b32 s2, 0xffff, s20
	s_cmp_lt_i32 s2, 5
	s_mov_b64 s[0:1], -1
	s_cbranch_scc1 .LBB8_1870
; %bb.1850:
	s_cmp_lt_i32 s2, 8
	s_cbranch_scc1 .LBB8_1860
; %bb.1851:
	s_cmp_lt_i32 s2, 9
	s_cbranch_scc1 .LBB8_1857
; %bb.1852:
	s_cmp_gt_i32 s2, 9
	s_cbranch_scc0 .LBB8_1854
; %bb.1853:
	v_mov_b32_e32 v6, 0
	v_mov_b32_e32 v7, v6
	global_store_dwordx4 v[0:1], v[4:7], off
	s_mov_b64 s[0:1], 0
.LBB8_1854:
	s_andn2_b64 vcc, exec, s[0:1]
	s_cbranch_vccnz .LBB8_1856
; %bb.1855:
	v_cvt_f32_f64_e32 v6, v[4:5]
	v_mov_b32_e32 v7, 0
	global_store_dwordx2 v[0:1], v[6:7], off
.LBB8_1856:
	s_mov_b64 s[0:1], 0
.LBB8_1857:
	s_andn2_b64 vcc, exec, s[0:1]
	s_cbranch_vccnz .LBB8_1859
; %bb.1858:
	s_movk_i32 s0, 0x1ff
	v_and_or_b32 v3, v5, s0, v4
	v_cmp_ne_u32_e32 vcc, 0, v3
	v_cndmask_b32_e64 v3, 0, 1, vcc
	v_lshrrev_b32_e32 v6, 8, v5
	s_movk_i32 s0, 0xffe
	v_bfe_u32 v7, v5, 20, 11
	v_and_or_b32 v3, v6, s0, v3
	v_sub_u32_e32 v10, 0x3f1, v7
	v_or_b32_e32 v6, 0x1000, v3
	v_med3_i32 v10, v10, 0, 13
	v_lshrrev_b32_e32 v11, v10, v6
	v_lshlrev_b32_e32 v10, v10, v11
	v_cmp_ne_u32_e32 vcc, v10, v6
	v_cndmask_b32_e64 v6, 0, 1, vcc
	v_add_u32_e32 v7, 0xfffffc10, v7
	v_or_b32_e32 v6, v11, v6
	v_lshl_or_b32 v10, v7, 12, v3
	v_cmp_gt_i32_e32 vcc, 1, v7
	v_cndmask_b32_e32 v6, v10, v6, vcc
	v_and_b32_e32 v10, 7, v6
	v_cmp_lt_i32_e32 vcc, 5, v10
	v_cndmask_b32_e64 v11, 0, 1, vcc
	v_cmp_eq_u32_e32 vcc, 3, v10
	v_cndmask_b32_e64 v10, 0, 1, vcc
	v_or_b32_e32 v10, v10, v11
	v_lshrrev_b32_e32 v6, 2, v6
	v_add_u32_e32 v6, v6, v10
	v_mov_b32_e32 v10, 0x7c00
	v_cmp_gt_i32_e32 vcc, 31, v7
	v_cndmask_b32_e32 v6, v10, v6, vcc
	v_mov_b32_e32 v11, 0x7e00
	v_cmp_ne_u32_e32 vcc, 0, v3
	s_movk_i32 s0, 0x40f
	v_cndmask_b32_e32 v3, v10, v11, vcc
	v_cmp_eq_u32_e32 vcc, s0, v7
	v_cndmask_b32_e32 v3, v6, v3, vcc
	v_lshrrev_b32_e32 v6, 16, v5
	s_mov_b32 s0, 0x8000
	v_and_or_b32 v3, v6, s0, v3
	v_and_b32_e32 v3, 0xffff, v3
	global_store_dword v[0:1], v3, off
.LBB8_1859:
	s_mov_b64 s[0:1], 0
.LBB8_1860:
	s_andn2_b64 vcc, exec, s[0:1]
	s_cbranch_vccnz .LBB8_1869
; %bb.1861:
	s_cmp_lt_i32 s2, 6
	s_mov_b64 s[0:1], -1
	s_cbranch_scc1 .LBB8_1867
; %bb.1862:
	s_cmp_gt_i32 s2, 6
	s_cbranch_scc0 .LBB8_1864
; %bb.1863:
	global_store_dwordx2 v[0:1], v[4:5], off
	s_mov_b64 s[0:1], 0
.LBB8_1864:
	s_andn2_b64 vcc, exec, s[0:1]
	s_cbranch_vccnz .LBB8_1866
; %bb.1865:
	v_cvt_f32_f64_e32 v3, v[4:5]
	global_store_dword v[0:1], v3, off
.LBB8_1866:
	s_mov_b64 s[0:1], 0
.LBB8_1867:
	s_andn2_b64 vcc, exec, s[0:1]
	s_cbranch_vccnz .LBB8_1869
; %bb.1868:
	s_movk_i32 s0, 0x1ff
	v_and_or_b32 v3, v5, s0, v4
	v_cmp_ne_u32_e32 vcc, 0, v3
	v_cndmask_b32_e64 v3, 0, 1, vcc
	v_lshrrev_b32_e32 v6, 8, v5
	s_movk_i32 s0, 0xffe
	v_bfe_u32 v7, v5, 20, 11
	v_and_or_b32 v3, v6, s0, v3
	v_sub_u32_e32 v10, 0x3f1, v7
	v_or_b32_e32 v6, 0x1000, v3
	v_med3_i32 v10, v10, 0, 13
	v_lshrrev_b32_e32 v11, v10, v6
	v_lshlrev_b32_e32 v10, v10, v11
	v_cmp_ne_u32_e32 vcc, v10, v6
	v_cndmask_b32_e64 v6, 0, 1, vcc
	v_add_u32_e32 v7, 0xfffffc10, v7
	v_or_b32_e32 v6, v11, v6
	v_lshl_or_b32 v10, v7, 12, v3
	v_cmp_gt_i32_e32 vcc, 1, v7
	v_cndmask_b32_e32 v6, v10, v6, vcc
	v_and_b32_e32 v10, 7, v6
	v_cmp_lt_i32_e32 vcc, 5, v10
	v_cndmask_b32_e64 v11, 0, 1, vcc
	v_cmp_eq_u32_e32 vcc, 3, v10
	v_cndmask_b32_e64 v10, 0, 1, vcc
	v_or_b32_e32 v10, v10, v11
	v_lshrrev_b32_e32 v6, 2, v6
	v_add_u32_e32 v6, v6, v10
	v_mov_b32_e32 v10, 0x7c00
	v_cmp_gt_i32_e32 vcc, 31, v7
	v_cndmask_b32_e32 v6, v10, v6, vcc
	v_mov_b32_e32 v11, 0x7e00
	v_cmp_ne_u32_e32 vcc, 0, v3
	s_movk_i32 s0, 0x40f
	v_cndmask_b32_e32 v3, v10, v11, vcc
	v_cmp_eq_u32_e32 vcc, s0, v7
	v_cndmask_b32_e32 v3, v6, v3, vcc
	v_lshrrev_b32_e32 v6, 16, v5
	s_mov_b32 s0, 0x8000
	v_and_or_b32 v3, v6, s0, v3
	global_store_short v[0:1], v3, off
.LBB8_1869:
	s_mov_b64 s[0:1], 0
.LBB8_1870:
	s_andn2_b64 vcc, exec, s[0:1]
	s_cbranch_vccnz .LBB8_1886
; %bb.1871:
	s_cmp_lt_i32 s2, 2
	s_mov_b64 s[0:1], -1
	s_cbranch_scc1 .LBB8_1881
; %bb.1872:
	s_cmp_lt_i32 s2, 3
	s_cbranch_scc1 .LBB8_1878
; %bb.1873:
	s_cmp_gt_i32 s2, 3
	s_cbranch_scc0 .LBB8_1875
; %bb.1874:
	v_trunc_f64_e32 v[6:7], v[4:5]
	s_movk_i32 s0, 0xffe0
	v_ldexp_f64 v[10:11], v[6:7], s0
	s_mov_b32 s0, 0
	s_mov_b32 s1, 0xc1f00000
	v_floor_f64_e32 v[10:11], v[10:11]
	v_fma_f64 v[6:7], v[10:11], s[0:1], v[6:7]
	v_cvt_i32_f64_e32 v11, v[10:11]
	s_mov_b64 s[0:1], 0
	v_cvt_u32_f64_e32 v10, v[6:7]
	global_store_dwordx2 v[0:1], v[10:11], off
.LBB8_1875:
	s_andn2_b64 vcc, exec, s[0:1]
	s_cbranch_vccnz .LBB8_1877
; %bb.1876:
	v_cvt_i32_f64_e32 v3, v[4:5]
	global_store_dword v[0:1], v3, off
.LBB8_1877:
	s_mov_b64 s[0:1], 0
.LBB8_1878:
	s_andn2_b64 vcc, exec, s[0:1]
	s_cbranch_vccnz .LBB8_1880
; %bb.1879:
	v_cvt_i32_f64_e32 v3, v[4:5]
	global_store_short v[0:1], v3, off
.LBB8_1880:
	s_mov_b64 s[0:1], 0
.LBB8_1881:
	s_andn2_b64 vcc, exec, s[0:1]
	s_cbranch_vccnz .LBB8_1886
; %bb.1882:
	s_cmp_gt_i32 s2, 0
	s_mov_b64 s[0:1], -1
	s_cbranch_scc0 .LBB8_1884
; %bb.1883:
	v_cvt_i32_f64_e32 v3, v[4:5]
	s_mov_b64 s[0:1], 0
	global_store_byte v[0:1], v3, off
.LBB8_1884:
	s_andn2_b64 vcc, exec, s[0:1]
	s_cbranch_vccnz .LBB8_1886
; %bb.1885:
	v_trunc_f64_e32 v[3:4], v[4:5]
	s_movk_i32 s0, 0xffe0
	v_ldexp_f64 v[5:6], v[3:4], s0
	s_mov_b32 s0, 0
	s_mov_b32 s1, 0xc1f00000
	v_floor_f64_e32 v[5:6], v[5:6]
	v_fma_f64 v[3:4], v[5:6], s[0:1], v[3:4]
	v_cvt_u32_f64_e32 v3, v[3:4]
	global_store_byte v[0:1], v3, off
.LBB8_1886:
	s_mov_b64 s[10:11], -1
.LBB8_1887:
	s_andn2_b64 vcc, exec, s[10:11]
	s_cbranch_vccnz .LBB8_2083
; %bb.1888:
	v_add_u32_e32 v2, s18, v2
	v_ashrrev_i32_e32 v1, 31, v2
	v_mov_b32_e32 v3, s9
	v_add_co_u32_e32 v0, vcc, s8, v2
	s_cmp_lt_i32 s20, 11
	v_addc_co_u32_e32 v1, vcc, v3, v1, vcc
	s_cbranch_scc1 .LBB8_1966
; %bb.1889:
	s_and_b32 s19, 0xffff, s20
	s_mov_b64 s[12:13], -1
	s_mov_b64 s[2:3], 0
	s_cmp_gt_i32 s19, 25
	s_mov_b64 s[10:11], 0
	s_mov_b64 s[0:1], 0
	s_cbranch_scc0 .LBB8_1922
; %bb.1890:
	s_cmp_gt_i32 s19, 28
	s_cbranch_scc0 .LBB8_1905
; %bb.1891:
	s_cmp_gt_i32 s19, 43
	;; [unrolled: 3-line block ×3, first 2 shown]
	s_cbranch_scc0 .LBB8_1895
; %bb.1893:
	s_mov_b64 s[0:1], -1
	s_mov_b64 s[12:13], 0
	s_cmp_eq_u32 s19, 46
	s_cbranch_scc0 .LBB8_1895
; %bb.1894:
	v_cvt_f32_f64_e32 v3, v[8:9]
	s_movk_i32 s0, 0x7fff
	v_mov_b32_e32 v4, 0x7fc0
	s_mov_b64 s[10:11], -1
	v_bfe_u32 v5, v3, 16, 1
	v_cmp_o_f32_e32 vcc, v3, v3
	v_add3_u32 v3, v3, v5, s0
	v_cndmask_b32_sdwa v3, v4, v3, vcc dst_sel:DWORD dst_unused:UNUSED_PAD src0_sel:DWORD src1_sel:WORD_1
	global_store_dword v[0:1], v3, off
	s_mov_b64 s[0:1], 0
.LBB8_1895:
	s_and_b64 vcc, exec, s[12:13]
	s_cbranch_vccz .LBB8_1900
; %bb.1896:
	s_cmp_eq_u32 s19, 44
	s_mov_b64 s[0:1], -1
	s_cbranch_scc0 .LBB8_1900
; %bb.1897:
	v_cvt_f32_f64_e32 v3, v[8:9]
	s_movk_i32 s0, 0xff
	v_mov_b32_e32 v5, 0xff
	v_bfe_u32 v4, v3, 23, 8
	v_cmp_ne_u32_e32 vcc, s0, v4
	s_and_saveexec_b64 s[10:11], vcc
; %bb.1898:
	s_mov_b32 s0, 0x3fffff
	v_lshrrev_b32_e32 v5, 23, v3
	v_and_b32_e32 v6, 0x400000, v3
	v_and_or_b32 v3, v3, s0, v4
	v_cmp_ne_u32_e32 vcc, 0, v6
	v_cmp_ne_u32_e64 s[0:1], 0, v3
	s_and_b64 s[0:1], vcc, s[0:1]
	v_cndmask_b32_e64 v3, 0, 1, s[0:1]
	v_add_u32_e32 v5, v5, v3
; %bb.1899:
	s_or_b64 exec, exec, s[10:11]
	s_mov_b64 s[0:1], 0
	s_mov_b64 s[10:11], -1
	global_store_byte v[0:1], v5, off
.LBB8_1900:
	s_mov_b64 s[12:13], 0
.LBB8_1901:
	s_and_b64 vcc, exec, s[12:13]
	s_cbranch_vccz .LBB8_1904
; %bb.1902:
	s_cmp_eq_u32 s19, 29
	s_mov_b64 s[0:1], -1
	s_cbranch_scc0 .LBB8_1904
; %bb.1903:
	v_trunc_f64_e32 v[3:4], v[8:9]
	s_movk_i32 s0, 0xffe0
	s_mov_b64 s[10:11], -1
	v_ldexp_f64 v[5:6], v[3:4], s0
	s_mov_b32 s0, 0
	s_mov_b32 s1, 0xc1f00000
	v_floor_f64_e32 v[5:6], v[5:6]
	v_fma_f64 v[3:4], v[5:6], s[0:1], v[3:4]
	v_cvt_u32_f64_e32 v5, v[5:6]
	s_mov_b64 s[0:1], 0
	v_cvt_u32_f64_e32 v4, v[3:4]
	global_store_dwordx2 v[0:1], v[4:5], off
.LBB8_1904:
	s_mov_b64 s[12:13], 0
.LBB8_1905:
	s_and_b64 vcc, exec, s[12:13]
	s_cbranch_vccz .LBB8_1921
; %bb.1906:
	s_cmp_lt_i32 s19, 27
	s_mov_b64 s[10:11], -1
	s_cbranch_scc1 .LBB8_1912
; %bb.1907:
	v_cvt_u32_f64_e32 v3, v[8:9]
	s_cmp_gt_i32 s19, 27
	s_cbranch_scc0 .LBB8_1909
; %bb.1908:
	s_mov_b64 s[10:11], 0
	global_store_dword v[0:1], v3, off
.LBB8_1909:
	s_andn2_b64 vcc, exec, s[10:11]
	s_cbranch_vccnz .LBB8_1911
; %bb.1910:
	global_store_short v[0:1], v3, off
.LBB8_1911:
	s_mov_b64 s[10:11], 0
.LBB8_1912:
	s_andn2_b64 vcc, exec, s[10:11]
	s_cbranch_vccnz .LBB8_1920
; %bb.1913:
	v_cvt_f32_f64_e32 v3, v[8:9]
	s_mov_b32 s10, 0x43800000
	v_mov_b32_e32 v5, 0x80
	v_and_b32_e32 v4, 0x7fffffff, v3
	v_cmp_gt_u32_e32 vcc, s10, v4
	s_and_saveexec_b64 s[10:11], vcc
	s_cbranch_execz .LBB8_1919
; %bb.1914:
	s_mov_b32 s12, 0x3bffffff
	v_cmp_lt_u32_e32 vcc, s12, v4
	s_mov_b64 s[12:13], 0
                                        ; implicit-def: $vgpr4
	s_and_saveexec_b64 s[16:17], vcc
	s_xor_b64 s[16:17], exec, s[16:17]
	s_cbranch_execz .LBB8_2096
; %bb.1915:
	v_bfe_u32 v4, v3, 20, 1
	s_mov_b32 s21, 0x487ffff
	v_add3_u32 v4, v3, v4, s21
	s_mov_b64 s[12:13], exec
	v_lshrrev_b32_e32 v4, 20, v4
	s_andn2_saveexec_b64 s[16:17], s[16:17]
	s_cbranch_execnz .LBB8_2097
.LBB8_1916:
	s_or_b64 exec, exec, s[16:17]
	v_mov_b32_e32 v5, 0
	s_and_saveexec_b64 s[16:17], s[12:13]
.LBB8_1917:
	v_lshrrev_b32_e32 v3, 24, v3
	s_movk_i32 s12, 0x80
	v_and_or_b32 v5, v3, s12, v4
.LBB8_1918:
	s_or_b64 exec, exec, s[16:17]
.LBB8_1919:
	s_or_b64 exec, exec, s[10:11]
	global_store_byte v[0:1], v5, off
.LBB8_1920:
	s_mov_b64 s[10:11], -1
.LBB8_1921:
	s_mov_b64 s[12:13], 0
.LBB8_1922:
	s_and_b64 vcc, exec, s[12:13]
	s_cbranch_vccz .LBB8_1962
; %bb.1923:
	s_cmp_gt_i32 s19, 22
	s_mov_b64 s[2:3], -1
	s_cbranch_scc0 .LBB8_1955
; %bb.1924:
	s_cmp_lt_i32 s19, 24
	s_cbranch_scc1 .LBB8_1944
; %bb.1925:
	s_cmp_gt_i32 s19, 24
	s_cbranch_scc0 .LBB8_1933
; %bb.1926:
	v_cvt_f32_f64_e32 v3, v[8:9]
	s_mov_b32 s2, 0x47800000
	v_mov_b32_e32 v5, 0x80
	v_and_b32_e32 v4, 0x7fffffff, v3
	v_cmp_gt_u32_e32 vcc, s2, v4
	s_and_saveexec_b64 s[2:3], vcc
	s_cbranch_execz .LBB8_1932
; %bb.1927:
	s_mov_b32 s10, 0x37ffffff
	v_cmp_lt_u32_e32 vcc, s10, v4
	s_mov_b64 s[10:11], 0
                                        ; implicit-def: $vgpr4
	s_and_saveexec_b64 s[12:13], vcc
	s_xor_b64 s[12:13], exec, s[12:13]
	s_cbranch_execz .LBB8_2099
; %bb.1928:
	v_bfe_u32 v4, v3, 21, 1
	s_mov_b32 s16, 0x88fffff
	v_add3_u32 v4, v3, v4, s16
	s_mov_b64 s[10:11], exec
	v_lshrrev_b32_e32 v4, 21, v4
	s_andn2_saveexec_b64 s[12:13], s[12:13]
	s_cbranch_execnz .LBB8_2100
.LBB8_1929:
	s_or_b64 exec, exec, s[12:13]
	v_mov_b32_e32 v5, 0
	s_and_saveexec_b64 s[12:13], s[10:11]
.LBB8_1930:
	v_lshrrev_b32_e32 v3, 24, v3
	s_movk_i32 s10, 0x80
	v_and_or_b32 v5, v3, s10, v4
.LBB8_1931:
	s_or_b64 exec, exec, s[12:13]
.LBB8_1932:
	s_or_b64 exec, exec, s[2:3]
	s_mov_b64 s[2:3], 0
	global_store_byte v[0:1], v5, off
.LBB8_1933:
	s_and_b64 vcc, exec, s[2:3]
	s_cbranch_vccz .LBB8_1943
; %bb.1934:
	v_cvt_f32_f64_e32 v3, v[8:9]
	s_mov_b32 s2, 0x43f00000
                                        ; implicit-def: $vgpr4
	v_and_b32_e32 v5, 0x7fffffff, v3
	v_cmp_gt_u32_e32 vcc, s2, v5
	s_and_saveexec_b64 s[2:3], vcc
	s_xor_b64 s[2:3], exec, s[2:3]
	s_cbranch_execz .LBB8_1940
; %bb.1935:
	s_mov_b32 s10, 0x3c7fffff
	v_cmp_lt_u32_e32 vcc, s10, v5
                                        ; implicit-def: $vgpr4
	s_and_saveexec_b64 s[10:11], vcc
	s_xor_b64 s[10:11], exec, s[10:11]
; %bb.1936:
	v_bfe_u32 v4, v3, 20, 1
	s_mov_b32 s12, 0x407ffff
	v_add3_u32 v4, v3, v4, s12
	v_lshrrev_b32_e32 v5, 20, v4
	v_and_b32_e32 v4, 0xff00000, v4
	s_mov_b32 s12, 0x7f00000
	v_mov_b32_e32 v6, 0x7e
	v_cmp_ne_u32_e32 vcc, s12, v4
	v_cndmask_b32_e32 v4, v6, v5, vcc
; %bb.1937:
	s_andn2_saveexec_b64 s[10:11], s[10:11]
; %bb.1938:
	s_mov_b32 s12, 0x46800000
	v_add_f32_e64 v4, |v3|, s12
; %bb.1939:
	s_or_b64 exec, exec, s[10:11]
                                        ; implicit-def: $vgpr5
.LBB8_1940:
	s_andn2_saveexec_b64 s[2:3], s[2:3]
; %bb.1941:
	s_mov_b32 s10, 0x7f800000
	v_mov_b32_e32 v4, 0x7e
	v_mov_b32_e32 v6, 0x7f
	v_cmp_lt_u32_e32 vcc, s10, v5
	v_cndmask_b32_e32 v4, v4, v6, vcc
; %bb.1942:
	s_or_b64 exec, exec, s[2:3]
	v_lshrrev_b32_e32 v3, 24, v3
	s_movk_i32 s2, 0x80
	v_and_or_b32 v3, v3, s2, v4
	global_store_byte v[0:1], v3, off
.LBB8_1943:
	s_mov_b64 s[2:3], 0
.LBB8_1944:
	s_andn2_b64 vcc, exec, s[2:3]
	s_cbranch_vccnz .LBB8_1954
; %bb.1945:
	v_cvt_f32_f64_e32 v3, v[8:9]
	s_mov_b32 s2, 0x47800000
                                        ; implicit-def: $vgpr4
	v_and_b32_e32 v5, 0x7fffffff, v3
	v_cmp_gt_u32_e32 vcc, s2, v5
	s_and_saveexec_b64 s[2:3], vcc
	s_xor_b64 s[2:3], exec, s[2:3]
	s_cbranch_execz .LBB8_1951
; %bb.1946:
	s_mov_b32 s10, 0x387fffff
	v_cmp_lt_u32_e32 vcc, s10, v5
                                        ; implicit-def: $vgpr4
	s_and_saveexec_b64 s[10:11], vcc
	s_xor_b64 s[10:11], exec, s[10:11]
; %bb.1947:
	v_bfe_u32 v4, v3, 21, 1
	s_mov_b32 s12, 0x80fffff
	v_add3_u32 v4, v3, v4, s12
	v_lshrrev_b32_e32 v4, 21, v4
; %bb.1948:
	s_andn2_saveexec_b64 s[10:11], s[10:11]
; %bb.1949:
	s_mov_b32 s12, 0x43000000
	v_add_f32_e64 v4, |v3|, s12
; %bb.1950:
	s_or_b64 exec, exec, s[10:11]
                                        ; implicit-def: $vgpr5
.LBB8_1951:
	s_andn2_saveexec_b64 s[2:3], s[2:3]
; %bb.1952:
	s_mov_b32 s10, 0x7f800000
	v_mov_b32_e32 v4, 0x7c
	v_mov_b32_e32 v6, 0x7f
	v_cmp_lt_u32_e32 vcc, s10, v5
	v_cndmask_b32_e32 v4, v4, v6, vcc
; %bb.1953:
	s_or_b64 exec, exec, s[2:3]
	v_lshrrev_b32_e32 v3, 24, v3
	s_movk_i32 s2, 0x80
	v_and_or_b32 v3, v3, s2, v4
	global_store_byte v[0:1], v3, off
.LBB8_1954:
	s_mov_b64 s[2:3], 0
	s_mov_b64 s[10:11], -1
.LBB8_1955:
	s_andn2_b64 vcc, exec, s[2:3]
	s_mov_b64 s[2:3], 0
	s_cbranch_vccnz .LBB8_1962
; %bb.1956:
	s_cmp_gt_i32 s19, 14
	s_mov_b64 s[12:13], -1
	s_cbranch_scc0 .LBB8_1960
; %bb.1957:
	s_cmp_eq_u32 s19, 15
	s_mov_b64 s[0:1], -1
	s_cbranch_scc0 .LBB8_1959
; %bb.1958:
	v_cvt_f32_f64_e32 v3, v[8:9]
	s_movk_i32 s0, 0x7fff
	v_mov_b32_e32 v4, 0x7fc0
	s_mov_b64 s[10:11], -1
	v_bfe_u32 v5, v3, 16, 1
	v_cmp_o_f32_e32 vcc, v3, v3
	v_add3_u32 v3, v3, v5, s0
	v_cndmask_b32_sdwa v3, v4, v3, vcc dst_sel:DWORD dst_unused:UNUSED_PAD src0_sel:DWORD src1_sel:WORD_1
	global_store_short v[0:1], v3, off
	s_mov_b64 s[0:1], 0
.LBB8_1959:
	s_mov_b64 s[12:13], 0
.LBB8_1960:
	s_and_b64 vcc, exec, s[12:13]
	s_cbranch_vccz .LBB8_1962
; %bb.1961:
	s_cmp_lg_u32 s19, 11
	s_mov_b64 s[2:3], -1
	s_cselect_b64 s[0:1], -1, 0
.LBB8_1962:
	s_and_b64 vcc, exec, s[0:1]
	s_cbranch_vccnz .LBB8_2098
; %bb.1963:
	s_andn2_b64 vcc, exec, s[2:3]
	s_cbranch_vccnz .LBB8_1965
.LBB8_1964:
	v_cmp_neq_f64_e32 vcc, 0, v[8:9]
	s_mov_b64 s[10:11], -1
	v_cndmask_b32_e64 v3, 0, 1, vcc
	global_store_byte v[0:1], v3, off
.LBB8_1965:
	s_mov_b64 s[0:1], 0
	s_branch .LBB8_1967
.LBB8_1966:
	s_mov_b64 s[0:1], -1
	s_mov_b64 s[10:11], 0
.LBB8_1967:
	s_and_b64 vcc, exec, s[0:1]
	s_cbranch_vccz .LBB8_2006
; %bb.1968:
	s_and_b32 s2, 0xffff, s20
	s_cmp_lt_i32 s2, 5
	s_mov_b64 s[0:1], -1
	s_cbranch_scc1 .LBB8_1989
; %bb.1969:
	s_cmp_lt_i32 s2, 8
	s_cbranch_scc1 .LBB8_1979
; %bb.1970:
	s_cmp_lt_i32 s2, 9
	s_cbranch_scc1 .LBB8_1976
; %bb.1971:
	s_cmp_gt_i32 s2, 9
	s_cbranch_scc0 .LBB8_1973
; %bb.1972:
	v_mov_b32_e32 v10, 0
	v_mov_b32_e32 v11, v10
	global_store_dwordx4 v[0:1], v[8:11], off
	s_mov_b64 s[0:1], 0
.LBB8_1973:
	s_andn2_b64 vcc, exec, s[0:1]
	s_cbranch_vccnz .LBB8_1975
; %bb.1974:
	v_cvt_f32_f64_e32 v3, v[8:9]
	v_mov_b32_e32 v4, 0
	global_store_dwordx2 v[0:1], v[3:4], off
.LBB8_1975:
	s_mov_b64 s[0:1], 0
.LBB8_1976:
	s_andn2_b64 vcc, exec, s[0:1]
	s_cbranch_vccnz .LBB8_1978
; %bb.1977:
	s_movk_i32 s0, 0x1ff
	v_and_or_b32 v3, v9, s0, v8
	v_cmp_ne_u32_e32 vcc, 0, v3
	v_cndmask_b32_e64 v3, 0, 1, vcc
	v_lshrrev_b32_e32 v4, 8, v9
	s_movk_i32 s0, 0xffe
	v_bfe_u32 v5, v9, 20, 11
	v_and_or_b32 v3, v4, s0, v3
	v_sub_u32_e32 v6, 0x3f1, v5
	v_or_b32_e32 v4, 0x1000, v3
	v_med3_i32 v6, v6, 0, 13
	v_lshrrev_b32_e32 v7, v6, v4
	v_lshlrev_b32_e32 v6, v6, v7
	v_cmp_ne_u32_e32 vcc, v6, v4
	v_cndmask_b32_e64 v4, 0, 1, vcc
	v_add_u32_e32 v5, 0xfffffc10, v5
	v_or_b32_e32 v4, v7, v4
	v_lshl_or_b32 v6, v5, 12, v3
	v_cmp_gt_i32_e32 vcc, 1, v5
	v_cndmask_b32_e32 v4, v6, v4, vcc
	v_and_b32_e32 v6, 7, v4
	v_cmp_lt_i32_e32 vcc, 5, v6
	v_cndmask_b32_e64 v7, 0, 1, vcc
	v_cmp_eq_u32_e32 vcc, 3, v6
	v_cndmask_b32_e64 v6, 0, 1, vcc
	v_or_b32_e32 v6, v6, v7
	v_lshrrev_b32_e32 v4, 2, v4
	v_add_u32_e32 v4, v4, v6
	v_mov_b32_e32 v6, 0x7c00
	v_cmp_gt_i32_e32 vcc, 31, v5
	v_cndmask_b32_e32 v4, v6, v4, vcc
	v_mov_b32_e32 v7, 0x7e00
	v_cmp_ne_u32_e32 vcc, 0, v3
	s_movk_i32 s0, 0x40f
	v_cndmask_b32_e32 v3, v6, v7, vcc
	v_cmp_eq_u32_e32 vcc, s0, v5
	v_cndmask_b32_e32 v3, v4, v3, vcc
	v_lshrrev_b32_e32 v4, 16, v9
	s_mov_b32 s0, 0x8000
	v_and_or_b32 v3, v4, s0, v3
	v_and_b32_e32 v3, 0xffff, v3
	global_store_dword v[0:1], v3, off
.LBB8_1978:
	s_mov_b64 s[0:1], 0
.LBB8_1979:
	s_andn2_b64 vcc, exec, s[0:1]
	s_cbranch_vccnz .LBB8_1988
; %bb.1980:
	s_cmp_lt_i32 s2, 6
	s_mov_b64 s[0:1], -1
	s_cbranch_scc1 .LBB8_1986
; %bb.1981:
	s_cmp_gt_i32 s2, 6
	s_cbranch_scc0 .LBB8_1983
; %bb.1982:
	global_store_dwordx2 v[0:1], v[8:9], off
	s_mov_b64 s[0:1], 0
.LBB8_1983:
	s_andn2_b64 vcc, exec, s[0:1]
	s_cbranch_vccnz .LBB8_1985
; %bb.1984:
	v_cvt_f32_f64_e32 v3, v[8:9]
	global_store_dword v[0:1], v3, off
.LBB8_1985:
	s_mov_b64 s[0:1], 0
.LBB8_1986:
	s_andn2_b64 vcc, exec, s[0:1]
	s_cbranch_vccnz .LBB8_1988
; %bb.1987:
	s_movk_i32 s0, 0x1ff
	v_and_or_b32 v3, v9, s0, v8
	v_cmp_ne_u32_e32 vcc, 0, v3
	v_cndmask_b32_e64 v3, 0, 1, vcc
	v_lshrrev_b32_e32 v4, 8, v9
	s_movk_i32 s0, 0xffe
	v_bfe_u32 v5, v9, 20, 11
	v_and_or_b32 v3, v4, s0, v3
	v_sub_u32_e32 v6, 0x3f1, v5
	v_or_b32_e32 v4, 0x1000, v3
	v_med3_i32 v6, v6, 0, 13
	v_lshrrev_b32_e32 v7, v6, v4
	v_lshlrev_b32_e32 v6, v6, v7
	v_cmp_ne_u32_e32 vcc, v6, v4
	v_cndmask_b32_e64 v4, 0, 1, vcc
	v_add_u32_e32 v5, 0xfffffc10, v5
	v_or_b32_e32 v4, v7, v4
	v_lshl_or_b32 v6, v5, 12, v3
	v_cmp_gt_i32_e32 vcc, 1, v5
	v_cndmask_b32_e32 v4, v6, v4, vcc
	v_and_b32_e32 v6, 7, v4
	v_cmp_lt_i32_e32 vcc, 5, v6
	v_cndmask_b32_e64 v7, 0, 1, vcc
	v_cmp_eq_u32_e32 vcc, 3, v6
	v_cndmask_b32_e64 v6, 0, 1, vcc
	v_or_b32_e32 v6, v6, v7
	v_lshrrev_b32_e32 v4, 2, v4
	v_add_u32_e32 v4, v4, v6
	v_mov_b32_e32 v6, 0x7c00
	v_cmp_gt_i32_e32 vcc, 31, v5
	v_cndmask_b32_e32 v4, v6, v4, vcc
	v_mov_b32_e32 v7, 0x7e00
	v_cmp_ne_u32_e32 vcc, 0, v3
	s_movk_i32 s0, 0x40f
	v_cndmask_b32_e32 v3, v6, v7, vcc
	v_cmp_eq_u32_e32 vcc, s0, v5
	v_cndmask_b32_e32 v3, v4, v3, vcc
	v_lshrrev_b32_e32 v4, 16, v9
	s_mov_b32 s0, 0x8000
	v_and_or_b32 v3, v4, s0, v3
	global_store_short v[0:1], v3, off
.LBB8_1988:
	s_mov_b64 s[0:1], 0
.LBB8_1989:
	s_andn2_b64 vcc, exec, s[0:1]
	s_cbranch_vccnz .LBB8_2005
; %bb.1990:
	s_cmp_lt_i32 s2, 2
	s_mov_b64 s[0:1], -1
	s_cbranch_scc1 .LBB8_2000
; %bb.1991:
	s_cmp_lt_i32 s2, 3
	s_cbranch_scc1 .LBB8_1997
; %bb.1992:
	s_cmp_gt_i32 s2, 3
	s_cbranch_scc0 .LBB8_1994
; %bb.1993:
	v_trunc_f64_e32 v[3:4], v[8:9]
	s_movk_i32 s0, 0xffe0
	v_ldexp_f64 v[5:6], v[3:4], s0
	s_mov_b32 s0, 0
	s_mov_b32 s1, 0xc1f00000
	v_floor_f64_e32 v[5:6], v[5:6]
	v_fma_f64 v[3:4], v[5:6], s[0:1], v[3:4]
	v_cvt_i32_f64_e32 v5, v[5:6]
	s_mov_b64 s[0:1], 0
	v_cvt_u32_f64_e32 v4, v[3:4]
	global_store_dwordx2 v[0:1], v[4:5], off
.LBB8_1994:
	s_andn2_b64 vcc, exec, s[0:1]
	s_cbranch_vccnz .LBB8_1996
; %bb.1995:
	v_cvt_i32_f64_e32 v3, v[8:9]
	global_store_dword v[0:1], v3, off
.LBB8_1996:
	s_mov_b64 s[0:1], 0
.LBB8_1997:
	s_andn2_b64 vcc, exec, s[0:1]
	s_cbranch_vccnz .LBB8_1999
; %bb.1998:
	v_cvt_i32_f64_e32 v3, v[8:9]
	global_store_short v[0:1], v3, off
.LBB8_1999:
	s_mov_b64 s[0:1], 0
.LBB8_2000:
	s_andn2_b64 vcc, exec, s[0:1]
	s_cbranch_vccnz .LBB8_2005
; %bb.2001:
	s_cmp_gt_i32 s2, 0
	s_mov_b64 s[0:1], -1
	s_cbranch_scc0 .LBB8_2003
; %bb.2002:
	v_cvt_i32_f64_e32 v3, v[8:9]
	s_mov_b64 s[0:1], 0
	global_store_byte v[0:1], v3, off
.LBB8_2003:
	s_andn2_b64 vcc, exec, s[0:1]
	s_cbranch_vccnz .LBB8_2005
; %bb.2004:
	v_trunc_f64_e32 v[3:4], v[8:9]
	s_movk_i32 s0, 0xffe0
	v_ldexp_f64 v[5:6], v[3:4], s0
	s_mov_b32 s0, 0
	s_mov_b32 s1, 0xc1f00000
	v_floor_f64_e32 v[5:6], v[5:6]
	v_fma_f64 v[3:4], v[5:6], s[0:1], v[3:4]
	v_cvt_u32_f64_e32 v3, v[3:4]
	global_store_byte v[0:1], v3, off
.LBB8_2005:
	s_mov_b64 s[10:11], -1
.LBB8_2006:
	s_andn2_b64 vcc, exec, s[10:11]
	s_cbranch_vccnz .LBB8_2083
; %bb.2007:
	v_add_u32_e32 v0, s18, v2
	v_ashrrev_i32_e32 v1, 31, v0
	v_mov_b32_e32 v2, s9
	v_add_co_u32_e32 v0, vcc, s8, v0
	s_cmp_lt_i32 s20, 11
	v_addc_co_u32_e32 v1, vcc, v2, v1, vcc
	s_cbranch_scc1 .LBB8_2084
; %bb.2008:
	s_and_b32 s16, 0xffff, s20
	s_mov_b64 s[8:9], -1
	s_mov_b64 s[2:3], 0
	s_cmp_gt_i32 s16, 25
	s_mov_b64 s[0:1], 0
	s_cbranch_scc0 .LBB8_2041
; %bb.2009:
	s_cmp_gt_i32 s16, 28
	s_cbranch_scc0 .LBB8_2025
; %bb.2010:
	s_cmp_gt_i32 s16, 43
	;; [unrolled: 3-line block ×3, first 2 shown]
	s_cbranch_scc0 .LBB8_2015
; %bb.2012:
	s_cmp_eq_u32 s16, 46
	s_mov_b64 s[0:1], -1
	s_cbranch_scc0 .LBB8_2014
; %bb.2013:
	v_cvt_f32_f64_e32 v2, v[12:13]
	s_movk_i32 s0, 0x7fff
	v_mov_b32_e32 v3, 0x7fc0
	v_bfe_u32 v4, v2, 16, 1
	v_cmp_o_f32_e32 vcc, v2, v2
	v_add3_u32 v2, v2, v4, s0
	v_cndmask_b32_sdwa v2, v3, v2, vcc dst_sel:DWORD dst_unused:UNUSED_PAD src0_sel:DWORD src1_sel:WORD_1
	global_store_dword v[0:1], v2, off
	s_mov_b64 s[0:1], 0
.LBB8_2014:
	s_mov_b64 s[8:9], 0
.LBB8_2015:
	s_and_b64 vcc, exec, s[8:9]
	s_cbranch_vccz .LBB8_2020
; %bb.2016:
	s_cmp_eq_u32 s16, 44
	s_mov_b64 s[0:1], -1
	s_cbranch_scc0 .LBB8_2020
; %bb.2017:
	v_cvt_f32_f64_e32 v2, v[12:13]
	s_movk_i32 s0, 0xff
	v_mov_b32_e32 v4, 0xff
	v_bfe_u32 v3, v2, 23, 8
	v_cmp_ne_u32_e32 vcc, s0, v3
	s_and_saveexec_b64 s[8:9], vcc
; %bb.2018:
	s_mov_b32 s0, 0x3fffff
	v_lshrrev_b32_e32 v4, 23, v2
	v_and_b32_e32 v5, 0x400000, v2
	v_and_or_b32 v2, v2, s0, v3
	v_cmp_ne_u32_e32 vcc, 0, v5
	v_cmp_ne_u32_e64 s[0:1], 0, v2
	s_and_b64 s[0:1], vcc, s[0:1]
	v_cndmask_b32_e64 v2, 0, 1, s[0:1]
	v_add_u32_e32 v4, v4, v2
; %bb.2019:
	s_or_b64 exec, exec, s[8:9]
	s_mov_b64 s[0:1], 0
	global_store_byte v[0:1], v4, off
.LBB8_2020:
	s_mov_b64 s[8:9], 0
.LBB8_2021:
	s_and_b64 vcc, exec, s[8:9]
	s_cbranch_vccz .LBB8_2024
; %bb.2022:
	s_cmp_eq_u32 s16, 29
	s_mov_b64 s[0:1], -1
	s_cbranch_scc0 .LBB8_2024
; %bb.2023:
	v_trunc_f64_e32 v[2:3], v[12:13]
	s_movk_i32 s0, 0xffe0
	v_ldexp_f64 v[4:5], v[2:3], s0
	s_mov_b32 s0, 0
	s_mov_b32 s1, 0xc1f00000
	v_floor_f64_e32 v[4:5], v[4:5]
	v_fma_f64 v[2:3], v[4:5], s[0:1], v[2:3]
	v_cvt_u32_f64_e32 v4, v[4:5]
	s_mov_b64 s[0:1], 0
	v_cvt_u32_f64_e32 v3, v[2:3]
	global_store_dwordx2 v[0:1], v[3:4], off
.LBB8_2024:
	s_mov_b64 s[8:9], 0
.LBB8_2025:
	s_and_b64 vcc, exec, s[8:9]
	s_cbranch_vccz .LBB8_2040
; %bb.2026:
	s_cmp_lt_i32 s16, 27
	s_mov_b64 s[8:9], -1
	s_cbranch_scc1 .LBB8_2032
; %bb.2027:
	v_cvt_u32_f64_e32 v2, v[12:13]
	s_cmp_gt_i32 s16, 27
	s_cbranch_scc0 .LBB8_2029
; %bb.2028:
	global_store_dword v[0:1], v2, off
	s_mov_b64 s[8:9], 0
.LBB8_2029:
	s_andn2_b64 vcc, exec, s[8:9]
	s_cbranch_vccnz .LBB8_2031
; %bb.2030:
	global_store_short v[0:1], v2, off
.LBB8_2031:
	s_mov_b64 s[8:9], 0
.LBB8_2032:
	s_andn2_b64 vcc, exec, s[8:9]
	s_cbranch_vccnz .LBB8_2040
; %bb.2033:
	v_cvt_f32_f64_e32 v2, v[12:13]
	s_mov_b32 s8, 0x43800000
	v_mov_b32_e32 v4, 0x80
	v_and_b32_e32 v3, 0x7fffffff, v2
	v_cmp_gt_u32_e32 vcc, s8, v3
	s_and_saveexec_b64 s[8:9], vcc
	s_cbranch_execz .LBB8_2039
; %bb.2034:
	s_mov_b32 s10, 0x3bffffff
	v_cmp_lt_u32_e32 vcc, s10, v3
	s_mov_b64 s[10:11], 0
                                        ; implicit-def: $vgpr3
	s_and_saveexec_b64 s[12:13], vcc
	s_xor_b64 s[12:13], exec, s[12:13]
	s_cbranch_execz .LBB8_2101
; %bb.2035:
	v_bfe_u32 v3, v2, 20, 1
	s_mov_b32 s17, 0x487ffff
	v_add3_u32 v3, v2, v3, s17
	s_mov_b64 s[10:11], exec
	v_lshrrev_b32_e32 v3, 20, v3
	s_andn2_saveexec_b64 s[12:13], s[12:13]
	s_cbranch_execnz .LBB8_2102
.LBB8_2036:
	s_or_b64 exec, exec, s[12:13]
	v_mov_b32_e32 v4, 0
	s_and_saveexec_b64 s[12:13], s[10:11]
.LBB8_2037:
	v_lshrrev_b32_e32 v2, 24, v2
	s_movk_i32 s10, 0x80
	v_and_or_b32 v4, v2, s10, v3
.LBB8_2038:
	s_or_b64 exec, exec, s[12:13]
.LBB8_2039:
	s_or_b64 exec, exec, s[8:9]
	global_store_byte v[0:1], v4, off
.LBB8_2040:
	s_mov_b64 s[8:9], 0
.LBB8_2041:
	s_and_b64 vcc, exec, s[8:9]
	s_cbranch_vccz .LBB8_2081
; %bb.2042:
	s_cmp_gt_i32 s16, 22
	s_mov_b64 s[2:3], -1
	s_cbranch_scc0 .LBB8_2074
; %bb.2043:
	s_cmp_lt_i32 s16, 24
	s_cbranch_scc1 .LBB8_2063
; %bb.2044:
	s_cmp_gt_i32 s16, 24
	s_cbranch_scc0 .LBB8_2052
; %bb.2045:
	v_cvt_f32_f64_e32 v2, v[12:13]
	s_mov_b32 s2, 0x47800000
	v_mov_b32_e32 v4, 0x80
	v_and_b32_e32 v3, 0x7fffffff, v2
	v_cmp_gt_u32_e32 vcc, s2, v3
	s_and_saveexec_b64 s[2:3], vcc
	s_cbranch_execz .LBB8_2051
; %bb.2046:
	s_mov_b32 s8, 0x37ffffff
	v_cmp_lt_u32_e32 vcc, s8, v3
	s_mov_b64 s[8:9], 0
                                        ; implicit-def: $vgpr3
	s_and_saveexec_b64 s[10:11], vcc
	s_xor_b64 s[10:11], exec, s[10:11]
	s_cbranch_execz .LBB8_2104
; %bb.2047:
	v_bfe_u32 v3, v2, 21, 1
	s_mov_b32 s12, 0x88fffff
	v_add3_u32 v3, v2, v3, s12
	s_mov_b64 s[8:9], exec
	v_lshrrev_b32_e32 v3, 21, v3
	s_andn2_saveexec_b64 s[10:11], s[10:11]
	s_cbranch_execnz .LBB8_2105
.LBB8_2048:
	s_or_b64 exec, exec, s[10:11]
	v_mov_b32_e32 v4, 0
	s_and_saveexec_b64 s[10:11], s[8:9]
.LBB8_2049:
	v_lshrrev_b32_e32 v2, 24, v2
	s_movk_i32 s8, 0x80
	v_and_or_b32 v4, v2, s8, v3
.LBB8_2050:
	s_or_b64 exec, exec, s[10:11]
.LBB8_2051:
	s_or_b64 exec, exec, s[2:3]
	s_mov_b64 s[2:3], 0
	global_store_byte v[0:1], v4, off
.LBB8_2052:
	s_and_b64 vcc, exec, s[2:3]
	s_cbranch_vccz .LBB8_2062
; %bb.2053:
	v_cvt_f32_f64_e32 v2, v[12:13]
	s_mov_b32 s2, 0x43f00000
                                        ; implicit-def: $vgpr3
	v_and_b32_e32 v4, 0x7fffffff, v2
	v_cmp_gt_u32_e32 vcc, s2, v4
	s_and_saveexec_b64 s[2:3], vcc
	s_xor_b64 s[2:3], exec, s[2:3]
	s_cbranch_execz .LBB8_2059
; %bb.2054:
	s_mov_b32 s8, 0x3c7fffff
	v_cmp_lt_u32_e32 vcc, s8, v4
                                        ; implicit-def: $vgpr3
	s_and_saveexec_b64 s[8:9], vcc
	s_xor_b64 s[8:9], exec, s[8:9]
; %bb.2055:
	v_bfe_u32 v3, v2, 20, 1
	s_mov_b32 s10, 0x407ffff
	v_add3_u32 v3, v2, v3, s10
	v_lshrrev_b32_e32 v4, 20, v3
	v_and_b32_e32 v3, 0xff00000, v3
	s_mov_b32 s10, 0x7f00000
	v_mov_b32_e32 v5, 0x7e
	v_cmp_ne_u32_e32 vcc, s10, v3
	v_cndmask_b32_e32 v3, v5, v4, vcc
; %bb.2056:
	s_andn2_saveexec_b64 s[8:9], s[8:9]
; %bb.2057:
	s_mov_b32 s10, 0x46800000
	v_add_f32_e64 v3, |v2|, s10
; %bb.2058:
	s_or_b64 exec, exec, s[8:9]
                                        ; implicit-def: $vgpr4
.LBB8_2059:
	s_andn2_saveexec_b64 s[2:3], s[2:3]
; %bb.2060:
	s_mov_b32 s8, 0x7f800000
	v_mov_b32_e32 v3, 0x7e
	v_mov_b32_e32 v5, 0x7f
	v_cmp_lt_u32_e32 vcc, s8, v4
	v_cndmask_b32_e32 v3, v3, v5, vcc
; %bb.2061:
	s_or_b64 exec, exec, s[2:3]
	v_lshrrev_b32_e32 v2, 24, v2
	s_movk_i32 s2, 0x80
	v_and_or_b32 v2, v2, s2, v3
	global_store_byte v[0:1], v2, off
.LBB8_2062:
	s_mov_b64 s[2:3], 0
.LBB8_2063:
	s_andn2_b64 vcc, exec, s[2:3]
	s_cbranch_vccnz .LBB8_2073
; %bb.2064:
	v_cvt_f32_f64_e32 v2, v[12:13]
	s_mov_b32 s2, 0x47800000
                                        ; implicit-def: $vgpr3
	v_and_b32_e32 v4, 0x7fffffff, v2
	v_cmp_gt_u32_e32 vcc, s2, v4
	s_and_saveexec_b64 s[2:3], vcc
	s_xor_b64 s[2:3], exec, s[2:3]
	s_cbranch_execz .LBB8_2070
; %bb.2065:
	s_mov_b32 s8, 0x387fffff
	v_cmp_lt_u32_e32 vcc, s8, v4
                                        ; implicit-def: $vgpr3
	s_and_saveexec_b64 s[8:9], vcc
	s_xor_b64 s[8:9], exec, s[8:9]
; %bb.2066:
	v_bfe_u32 v3, v2, 21, 1
	s_mov_b32 s10, 0x80fffff
	v_add3_u32 v3, v2, v3, s10
	v_lshrrev_b32_e32 v3, 21, v3
; %bb.2067:
	s_andn2_saveexec_b64 s[8:9], s[8:9]
; %bb.2068:
	s_mov_b32 s10, 0x43000000
	v_add_f32_e64 v3, |v2|, s10
; %bb.2069:
	s_or_b64 exec, exec, s[8:9]
                                        ; implicit-def: $vgpr4
.LBB8_2070:
	s_andn2_saveexec_b64 s[2:3], s[2:3]
; %bb.2071:
	s_mov_b32 s8, 0x7f800000
	v_mov_b32_e32 v3, 0x7c
	v_mov_b32_e32 v5, 0x7f
	v_cmp_lt_u32_e32 vcc, s8, v4
	v_cndmask_b32_e32 v3, v3, v5, vcc
; %bb.2072:
	s_or_b64 exec, exec, s[2:3]
	v_lshrrev_b32_e32 v2, 24, v2
	s_movk_i32 s2, 0x80
	v_and_or_b32 v2, v2, s2, v3
	global_store_byte v[0:1], v2, off
.LBB8_2073:
	s_mov_b64 s[2:3], 0
.LBB8_2074:
	s_andn2_b64 vcc, exec, s[2:3]
	s_mov_b64 s[2:3], 0
	s_cbranch_vccnz .LBB8_2081
; %bb.2075:
	s_cmp_gt_i32 s16, 14
	s_mov_b64 s[8:9], -1
	s_cbranch_scc0 .LBB8_2079
; %bb.2076:
	s_cmp_eq_u32 s16, 15
	s_mov_b64 s[0:1], -1
	s_cbranch_scc0 .LBB8_2078
; %bb.2077:
	v_cvt_f32_f64_e32 v2, v[12:13]
	s_movk_i32 s0, 0x7fff
	v_mov_b32_e32 v3, 0x7fc0
	v_bfe_u32 v4, v2, 16, 1
	v_cmp_o_f32_e32 vcc, v2, v2
	v_add3_u32 v2, v2, v4, s0
	v_cndmask_b32_sdwa v2, v3, v2, vcc dst_sel:DWORD dst_unused:UNUSED_PAD src0_sel:DWORD src1_sel:WORD_1
	global_store_short v[0:1], v2, off
	s_mov_b64 s[0:1], 0
.LBB8_2078:
	s_mov_b64 s[8:9], 0
.LBB8_2079:
	s_and_b64 vcc, exec, s[8:9]
	s_cbranch_vccz .LBB8_2081
; %bb.2080:
	s_cmp_lg_u32 s16, 11
	s_mov_b64 s[2:3], -1
	s_cselect_b64 s[0:1], -1, 0
.LBB8_2081:
	s_and_b64 vcc, exec, s[0:1]
	s_cbranch_vccnz .LBB8_2103
.LBB8_2082:
	s_mov_b64 s[0:1], 0
	s_branch .LBB8_1684
.LBB8_2083:
	s_mov_b64 s[0:1], 0
                                        ; implicit-def: $sgpr20
                                        ; implicit-def: $vgpr0_vgpr1
	s_branch .LBB8_1683
.LBB8_2084:
	s_mov_b64 s[2:3], 0
	s_mov_b64 s[0:1], -1
	s_branch .LBB8_1684
.LBB8_2085:
	s_trap 2
	s_or_b64 s[14:15], s[14:15], exec
	s_cbranch_execz .LBB8_1544
	s_branch .LBB8_1545
.LBB8_2086:
	s_andn2_saveexec_b64 s[18:19], s[18:19]
	s_cbranch_execz .LBB8_1632
.LBB8_2087:
	s_mov_b32 s21, 0x46000000
	v_add_f32_e64 v3, |v2|, s21
	v_and_b32_e32 v3, 0xff, v3
	v_cmp_ne_u32_e32 vcc, 0, v3
	s_andn2_b64 s[16:17], s[16:17], exec
	s_and_b64 s[22:23], vcc, exec
	s_or_b64 s[16:17], s[16:17], s[22:23]
	s_or_b64 exec, exec, s[18:19]
	v_mov_b32_e32 v11, 0
	s_and_saveexec_b64 s[18:19], s[16:17]
	s_cbranch_execnz .LBB8_1633
	s_branch .LBB8_1634
.LBB8_2088:
	s_trap 2
	s_or_b64 s[14:15], s[14:15], exec
	s_cbranch_execz .LBB8_1680
	s_branch .LBB8_1681
.LBB8_2089:
	s_andn2_saveexec_b64 s[16:17], s[16:17]
	s_cbranch_execz .LBB8_1645
.LBB8_2090:
	s_mov_b32 s18, 0x42800000
	v_add_f32_e64 v3, |v2|, s18
	v_and_b32_e32 v3, 0xff, v3
	v_cmp_ne_u32_e32 vcc, 0, v3
	s_andn2_b64 s[12:13], s[12:13], exec
	s_and_b64 s[18:19], vcc, exec
	s_or_b64 s[12:13], s[12:13], s[18:19]
	s_or_b64 exec, exec, s[16:17]
	v_mov_b32_e32 v11, 0
	s_and_saveexec_b64 s[16:17], s[12:13]
	s_cbranch_execnz .LBB8_1646
	s_branch .LBB8_1647
.LBB8_2091:
	s_andn2_saveexec_b64 s[16:17], s[16:17]
	s_cbranch_execz .LBB8_1797
.LBB8_2092:
	s_mov_b32 s21, 0x46000000
	v_add_f32_e64 v6, |v3|, s21
	v_and_b32_e32 v6, 0xff, v6
	v_cmp_ne_u32_e32 vcc, 0, v6
	s_andn2_b64 s[12:13], s[12:13], exec
	s_and_b64 s[22:23], vcc, exec
	s_or_b64 s[12:13], s[12:13], s[22:23]
	s_or_b64 exec, exec, s[16:17]
	v_mov_b32_e32 v7, 0
	s_and_saveexec_b64 s[16:17], s[12:13]
	s_cbranch_execnz .LBB8_1798
	s_branch .LBB8_1799
.LBB8_2093:
	s_trap 2
	s_or_b64 s[14:15], s[14:15], exec
	s_cbranch_execz .LBB8_1845
	s_branch .LBB8_1846
.LBB8_2094:
	s_andn2_saveexec_b64 s[12:13], s[12:13]
	s_cbranch_execz .LBB8_1810
.LBB8_2095:
	s_mov_b32 s16, 0x42800000
	v_add_f32_e64 v6, |v3|, s16
	v_and_b32_e32 v6, 0xff, v6
	v_cmp_ne_u32_e32 vcc, 0, v6
	s_andn2_b64 s[10:11], s[10:11], exec
	s_and_b64 s[16:17], vcc, exec
	s_or_b64 s[10:11], s[10:11], s[16:17]
	s_or_b64 exec, exec, s[12:13]
	v_mov_b32_e32 v7, 0
	s_and_saveexec_b64 s[12:13], s[10:11]
	s_cbranch_execnz .LBB8_1811
	s_branch .LBB8_1812
.LBB8_2096:
	s_andn2_saveexec_b64 s[16:17], s[16:17]
	s_cbranch_execz .LBB8_1916
.LBB8_2097:
	s_mov_b32 s21, 0x46000000
	v_add_f32_e64 v4, |v3|, s21
	v_and_b32_e32 v4, 0xff, v4
	v_cmp_ne_u32_e32 vcc, 0, v4
	s_andn2_b64 s[12:13], s[12:13], exec
	s_and_b64 s[22:23], vcc, exec
	s_or_b64 s[12:13], s[12:13], s[22:23]
	s_or_b64 exec, exec, s[16:17]
	v_mov_b32_e32 v5, 0
	s_and_saveexec_b64 s[16:17], s[12:13]
	s_cbranch_execnz .LBB8_1917
	s_branch .LBB8_1918
.LBB8_2098:
	s_trap 2
	s_or_b64 s[14:15], s[14:15], exec
	s_cbranch_execz .LBB8_1964
	s_branch .LBB8_1965
.LBB8_2099:
	s_andn2_saveexec_b64 s[12:13], s[12:13]
	s_cbranch_execz .LBB8_1929
.LBB8_2100:
	s_mov_b32 s16, 0x42800000
	v_add_f32_e64 v4, |v3|, s16
	v_and_b32_e32 v4, 0xff, v4
	v_cmp_ne_u32_e32 vcc, 0, v4
	s_andn2_b64 s[10:11], s[10:11], exec
	s_and_b64 s[16:17], vcc, exec
	s_or_b64 s[10:11], s[10:11], s[16:17]
	s_or_b64 exec, exec, s[12:13]
	v_mov_b32_e32 v5, 0
	s_and_saveexec_b64 s[12:13], s[10:11]
	s_cbranch_execnz .LBB8_1930
	s_branch .LBB8_1931
.LBB8_2101:
	s_andn2_saveexec_b64 s[12:13], s[12:13]
	s_cbranch_execz .LBB8_2036
.LBB8_2102:
	s_mov_b32 s17, 0x46000000
	v_add_f32_e64 v3, |v2|, s17
	v_and_b32_e32 v3, 0xff, v3
	v_cmp_ne_u32_e32 vcc, 0, v3
	s_andn2_b64 s[10:11], s[10:11], exec
	s_and_b64 s[18:19], vcc, exec
	s_or_b64 s[10:11], s[10:11], s[18:19]
	s_or_b64 exec, exec, s[12:13]
	v_mov_b32_e32 v4, 0
	s_and_saveexec_b64 s[12:13], s[10:11]
	s_cbranch_execnz .LBB8_2037
	s_branch .LBB8_2038
.LBB8_2103:
	s_mov_b64 s[2:3], 0
	s_or_b64 s[14:15], s[14:15], exec
	s_trap 2
	s_branch .LBB8_2082
.LBB8_2104:
	s_andn2_saveexec_b64 s[10:11], s[10:11]
	s_cbranch_execz .LBB8_2048
.LBB8_2105:
	s_mov_b32 s12, 0x42800000
	v_add_f32_e64 v3, |v2|, s12
	v_and_b32_e32 v3, 0xff, v3
	v_cmp_ne_u32_e32 vcc, 0, v3
	s_andn2_b64 s[8:9], s[8:9], exec
	s_and_b64 s[12:13], vcc, exec
	s_or_b64 s[8:9], s[8:9], s[12:13]
	s_or_b64 exec, exec, s[10:11]
	v_mov_b32_e32 v4, 0
	s_and_saveexec_b64 s[10:11], s[8:9]
	s_cbranch_execnz .LBB8_2049
	s_branch .LBB8_2050
	.section	.rodata,"a",@progbits
	.p2align	6, 0x0
	.amdhsa_kernel _ZN2at6native32elementwise_kernel_manual_unrollILi128ELi4EZNS0_15gpu_kernel_implIZZZNS0_12_GLOBAL__N_137scaled_modified_bessel_k0_kernel_cudaERNS_18TensorIteratorBaseEENKUlvE_clEvENKUlvE_clEvEUldE_EEvS5_RKT_EUlibE_EEviT1_
		.amdhsa_group_segment_fixed_size 0
		.amdhsa_private_segment_fixed_size 0
		.amdhsa_kernarg_size 40
		.amdhsa_user_sgpr_count 6
		.amdhsa_user_sgpr_private_segment_buffer 1
		.amdhsa_user_sgpr_dispatch_ptr 0
		.amdhsa_user_sgpr_queue_ptr 0
		.amdhsa_user_sgpr_kernarg_segment_ptr 1
		.amdhsa_user_sgpr_dispatch_id 0
		.amdhsa_user_sgpr_flat_scratch_init 0
		.amdhsa_user_sgpr_private_segment_size 0
		.amdhsa_uses_dynamic_stack 0
		.amdhsa_system_sgpr_private_segment_wavefront_offset 0
		.amdhsa_system_sgpr_workgroup_id_x 1
		.amdhsa_system_sgpr_workgroup_id_y 0
		.amdhsa_system_sgpr_workgroup_id_z 0
		.amdhsa_system_sgpr_workgroup_info 0
		.amdhsa_system_vgpr_workitem_id 0
		.amdhsa_next_free_vgpr 45
		.amdhsa_next_free_sgpr 60
		.amdhsa_reserve_vcc 1
		.amdhsa_reserve_flat_scratch 0
		.amdhsa_float_round_mode_32 0
		.amdhsa_float_round_mode_16_64 0
		.amdhsa_float_denorm_mode_32 3
		.amdhsa_float_denorm_mode_16_64 3
		.amdhsa_dx10_clamp 1
		.amdhsa_ieee_mode 1
		.amdhsa_fp16_overflow 0
		.amdhsa_exception_fp_ieee_invalid_op 0
		.amdhsa_exception_fp_denorm_src 0
		.amdhsa_exception_fp_ieee_div_zero 0
		.amdhsa_exception_fp_ieee_overflow 0
		.amdhsa_exception_fp_ieee_underflow 0
		.amdhsa_exception_fp_ieee_inexact 0
		.amdhsa_exception_int_div_zero 0
	.end_amdhsa_kernel
	.section	.text._ZN2at6native32elementwise_kernel_manual_unrollILi128ELi4EZNS0_15gpu_kernel_implIZZZNS0_12_GLOBAL__N_137scaled_modified_bessel_k0_kernel_cudaERNS_18TensorIteratorBaseEENKUlvE_clEvENKUlvE_clEvEUldE_EEvS5_RKT_EUlibE_EEviT1_,"axG",@progbits,_ZN2at6native32elementwise_kernel_manual_unrollILi128ELi4EZNS0_15gpu_kernel_implIZZZNS0_12_GLOBAL__N_137scaled_modified_bessel_k0_kernel_cudaERNS_18TensorIteratorBaseEENKUlvE_clEvENKUlvE_clEvEUldE_EEvS5_RKT_EUlibE_EEviT1_,comdat
.Lfunc_end8:
	.size	_ZN2at6native32elementwise_kernel_manual_unrollILi128ELi4EZNS0_15gpu_kernel_implIZZZNS0_12_GLOBAL__N_137scaled_modified_bessel_k0_kernel_cudaERNS_18TensorIteratorBaseEENKUlvE_clEvENKUlvE_clEvEUldE_EEvS5_RKT_EUlibE_EEviT1_, .Lfunc_end8-_ZN2at6native32elementwise_kernel_manual_unrollILi128ELi4EZNS0_15gpu_kernel_implIZZZNS0_12_GLOBAL__N_137scaled_modified_bessel_k0_kernel_cudaERNS_18TensorIteratorBaseEENKUlvE_clEvENKUlvE_clEvEUldE_EEvS5_RKT_EUlibE_EEviT1_
                                        ; -- End function
	.set _ZN2at6native32elementwise_kernel_manual_unrollILi128ELi4EZNS0_15gpu_kernel_implIZZZNS0_12_GLOBAL__N_137scaled_modified_bessel_k0_kernel_cudaERNS_18TensorIteratorBaseEENKUlvE_clEvENKUlvE_clEvEUldE_EEvS5_RKT_EUlibE_EEviT1_.num_vgpr, 45
	.set _ZN2at6native32elementwise_kernel_manual_unrollILi128ELi4EZNS0_15gpu_kernel_implIZZZNS0_12_GLOBAL__N_137scaled_modified_bessel_k0_kernel_cudaERNS_18TensorIteratorBaseEENKUlvE_clEvENKUlvE_clEvEUldE_EEvS5_RKT_EUlibE_EEviT1_.num_agpr, 0
	.set _ZN2at6native32elementwise_kernel_manual_unrollILi128ELi4EZNS0_15gpu_kernel_implIZZZNS0_12_GLOBAL__N_137scaled_modified_bessel_k0_kernel_cudaERNS_18TensorIteratorBaseEENKUlvE_clEvENKUlvE_clEvEUldE_EEvS5_RKT_EUlibE_EEviT1_.numbered_sgpr, 60
	.set _ZN2at6native32elementwise_kernel_manual_unrollILi128ELi4EZNS0_15gpu_kernel_implIZZZNS0_12_GLOBAL__N_137scaled_modified_bessel_k0_kernel_cudaERNS_18TensorIteratorBaseEENKUlvE_clEvENKUlvE_clEvEUldE_EEvS5_RKT_EUlibE_EEviT1_.num_named_barrier, 0
	.set _ZN2at6native32elementwise_kernel_manual_unrollILi128ELi4EZNS0_15gpu_kernel_implIZZZNS0_12_GLOBAL__N_137scaled_modified_bessel_k0_kernel_cudaERNS_18TensorIteratorBaseEENKUlvE_clEvENKUlvE_clEvEUldE_EEvS5_RKT_EUlibE_EEviT1_.private_seg_size, 0
	.set _ZN2at6native32elementwise_kernel_manual_unrollILi128ELi4EZNS0_15gpu_kernel_implIZZZNS0_12_GLOBAL__N_137scaled_modified_bessel_k0_kernel_cudaERNS_18TensorIteratorBaseEENKUlvE_clEvENKUlvE_clEvEUldE_EEvS5_RKT_EUlibE_EEviT1_.uses_vcc, 1
	.set _ZN2at6native32elementwise_kernel_manual_unrollILi128ELi4EZNS0_15gpu_kernel_implIZZZNS0_12_GLOBAL__N_137scaled_modified_bessel_k0_kernel_cudaERNS_18TensorIteratorBaseEENKUlvE_clEvENKUlvE_clEvEUldE_EEvS5_RKT_EUlibE_EEviT1_.uses_flat_scratch, 0
	.set _ZN2at6native32elementwise_kernel_manual_unrollILi128ELi4EZNS0_15gpu_kernel_implIZZZNS0_12_GLOBAL__N_137scaled_modified_bessel_k0_kernel_cudaERNS_18TensorIteratorBaseEENKUlvE_clEvENKUlvE_clEvEUldE_EEvS5_RKT_EUlibE_EEviT1_.has_dyn_sized_stack, 0
	.set _ZN2at6native32elementwise_kernel_manual_unrollILi128ELi4EZNS0_15gpu_kernel_implIZZZNS0_12_GLOBAL__N_137scaled_modified_bessel_k0_kernel_cudaERNS_18TensorIteratorBaseEENKUlvE_clEvENKUlvE_clEvEUldE_EEvS5_RKT_EUlibE_EEviT1_.has_recursion, 0
	.set _ZN2at6native32elementwise_kernel_manual_unrollILi128ELi4EZNS0_15gpu_kernel_implIZZZNS0_12_GLOBAL__N_137scaled_modified_bessel_k0_kernel_cudaERNS_18TensorIteratorBaseEENKUlvE_clEvENKUlvE_clEvEUldE_EEvS5_RKT_EUlibE_EEviT1_.has_indirect_call, 0
	.section	.AMDGPU.csdata,"",@progbits
; Kernel info:
; codeLenInByte = 64560
; TotalNumSgprs: 64
; NumVgprs: 45
; ScratchSize: 0
; MemoryBound: 1
; FloatMode: 240
; IeeeMode: 1
; LDSByteSize: 0 bytes/workgroup (compile time only)
; SGPRBlocks: 7
; VGPRBlocks: 11
; NumSGPRsForWavesPerEU: 64
; NumVGPRsForWavesPerEU: 45
; Occupancy: 5
; WaveLimiterHint : 0
; COMPUTE_PGM_RSRC2:SCRATCH_EN: 0
; COMPUTE_PGM_RSRC2:USER_SGPR: 6
; COMPUTE_PGM_RSRC2:TRAP_HANDLER: 0
; COMPUTE_PGM_RSRC2:TGID_X_EN: 1
; COMPUTE_PGM_RSRC2:TGID_Y_EN: 0
; COMPUTE_PGM_RSRC2:TGID_Z_EN: 0
; COMPUTE_PGM_RSRC2:TIDIG_COMP_CNT: 0
	.section	.text._ZN2at6native32elementwise_kernel_manual_unrollILi128ELi4EZNS0_15gpu_kernel_implIZZZNS0_12_GLOBAL__N_137scaled_modified_bessel_k0_kernel_cudaERNS_18TensorIteratorBaseEENKUlvE_clEvENKUlvE_clEvEUldE_EEvS5_RKT_EUlibE0_EEviT1_,"axG",@progbits,_ZN2at6native32elementwise_kernel_manual_unrollILi128ELi4EZNS0_15gpu_kernel_implIZZZNS0_12_GLOBAL__N_137scaled_modified_bessel_k0_kernel_cudaERNS_18TensorIteratorBaseEENKUlvE_clEvENKUlvE_clEvEUldE_EEvS5_RKT_EUlibE0_EEviT1_,comdat
	.globl	_ZN2at6native32elementwise_kernel_manual_unrollILi128ELi4EZNS0_15gpu_kernel_implIZZZNS0_12_GLOBAL__N_137scaled_modified_bessel_k0_kernel_cudaERNS_18TensorIteratorBaseEENKUlvE_clEvENKUlvE_clEvEUldE_EEvS5_RKT_EUlibE0_EEviT1_ ; -- Begin function _ZN2at6native32elementwise_kernel_manual_unrollILi128ELi4EZNS0_15gpu_kernel_implIZZZNS0_12_GLOBAL__N_137scaled_modified_bessel_k0_kernel_cudaERNS_18TensorIteratorBaseEENKUlvE_clEvENKUlvE_clEvEUldE_EEvS5_RKT_EUlibE0_EEviT1_
	.p2align	8
	.type	_ZN2at6native32elementwise_kernel_manual_unrollILi128ELi4EZNS0_15gpu_kernel_implIZZZNS0_12_GLOBAL__N_137scaled_modified_bessel_k0_kernel_cudaERNS_18TensorIteratorBaseEENKUlvE_clEvENKUlvE_clEvEUldE_EEvS5_RKT_EUlibE0_EEviT1_,@function
_ZN2at6native32elementwise_kernel_manual_unrollILi128ELi4EZNS0_15gpu_kernel_implIZZZNS0_12_GLOBAL__N_137scaled_modified_bessel_k0_kernel_cudaERNS_18TensorIteratorBaseEENKUlvE_clEvENKUlvE_clEvEUldE_EEvS5_RKT_EUlibE0_EEviT1_: ; @_ZN2at6native32elementwise_kernel_manual_unrollILi128ELi4EZNS0_15gpu_kernel_implIZZZNS0_12_GLOBAL__N_137scaled_modified_bessel_k0_kernel_cudaERNS_18TensorIteratorBaseEENKUlvE_clEvENKUlvE_clEvEUldE_EEvS5_RKT_EUlibE0_EEviT1_
; %bb.0:
	s_load_dword s75, s[4:5], 0x0
	s_load_dword s33, s[4:5], 0x8
	s_add_u32 s34, s4, 8
	s_addc_u32 s35, s5, 0
	v_lshl_or_b32 v11, s6, 9, v0
	v_or_b32_e32 v5, 0x180, v11
	s_waitcnt lgkmcnt(0)
	s_add_i32 s72, s33, -1
	s_cmp_gt_u32 s72, 1
	v_cmp_le_i32_e32 vcc, s75, v5
	s_cselect_b64 s[42:43], -1, 0
	s_mov_b64 s[40:41], 0
	s_mov_b64 s[6:7], 0
	s_and_saveexec_b64 s[0:1], vcc
	s_xor_b64 s[44:45], exec, s[0:1]
	s_cbranch_execz .LBB9_1118
; %bb.1:
	v_mov_b32_e32 v0, 0
	global_load_ushort v0, v0, s[34:35] offset:345
	s_load_dwordx4 s[36:39], s[34:35], 0x4
	s_load_dwordx2 s[6:7], s[34:35], 0x14
	s_load_dwordx4 s[28:31], s[34:35], 0xc4
	s_load_dwordx4 s[24:27], s[34:35], 0x148
	s_cmp_lg_u32 s33, 0
	s_cselect_b64 s[50:51], -1, 0
	s_add_u32 s48, s34, 0xc4
	s_addc_u32 s49, s35, 0
	s_min_u32 s76, s72, 15
	s_cmp_gt_u32 s33, 1
	s_cselect_b64 s[46:47], -1, 0
	v_cmp_gt_i32_e32 vcc, s75, v11
	s_mov_b64 s[2:3], -1
	s_mov_b64 s[60:61], 0
	s_mov_b64 s[54:55], 0
	;; [unrolled: 1-line block ×3, first 2 shown]
	s_waitcnt vmcnt(0)
	v_readfirstlane_b32 s73, v0
	s_and_b32 s0, 0xffff, s73
	s_lshr_b32 s74, s0, 8
	s_and_saveexec_b64 s[56:57], vcc
	s_cbranch_execz .LBB9_274
; %bb.2:
	s_andn2_b64 vcc, exec, s[42:43]
	s_cbranch_vccnz .LBB9_7
; %bb.3:
	s_andn2_b64 vcc, exec, s[50:51]
	s_cbranch_vccnz .LBB9_8
; %bb.4:
	s_add_i32 s59, s76, 1
	s_cmp_eq_u32 s72, 2
	s_cbranch_scc1 .LBB9_9
; %bb.5:
	s_and_b32 s58, s59, 28
	v_mov_b32_e32 v0, 0
	s_mov_b32 s62, 0
	s_mov_b64 s[52:53], s[34:35]
	s_mov_b64 s[54:55], s[48:49]
	v_mov_b32_e32 v2, 0
	v_mov_b32_e32 v1, v11
.LBB9_6:                                ; =>This Inner Loop Header: Depth=1
	s_load_dwordx8 s[16:23], s[52:53], 0x4
	s_load_dwordx4 s[0:3], s[52:53], 0x24
	s_load_dwordx8 s[8:15], s[54:55], 0x0
	s_add_u32 s52, s52, 48
	s_addc_u32 s53, s53, 0
	s_waitcnt lgkmcnt(0)
	v_mul_hi_u32 v3, s17, v1
	s_add_i32 s62, s62, 4
	s_add_u32 s54, s54, 32
	s_addc_u32 s55, s55, 0
	v_add_u32_e32 v3, v1, v3
	v_lshrrev_b32_e32 v3, s18, v3
	v_mul_lo_u32 v4, v3, s16
	v_mul_hi_u32 v5, s20, v3
	s_cmp_lg_u32 s58, s62
	v_sub_u32_e32 v1, v1, v4
	v_add_u32_e32 v4, v3, v5
	v_mul_lo_u32 v5, v1, s8
	v_mul_lo_u32 v6, v1, s9
	v_lshrrev_b32_e32 v1, s21, v4
	v_mul_lo_u32 v4, v1, s19
	v_mul_hi_u32 v7, s23, v1
	v_sub_u32_e32 v3, v3, v4
	v_add_u32_e32 v4, v1, v7
	v_lshrrev_b32_e32 v4, s0, v4
	v_mul_hi_u32 v8, s2, v4
	v_mul_lo_u32 v9, v4, s22
	v_mul_lo_u32 v7, v3, s10
	;; [unrolled: 1-line block ×3, first 2 shown]
	v_sub_u32_e32 v9, v1, v9
	v_add_u32_e32 v1, v4, v8
	v_lshrrev_b32_e32 v1, s3, v1
	v_mul_lo_u32 v8, v1, s1
	v_mul_lo_u32 v10, v9, s12
	;; [unrolled: 1-line block ×3, first 2 shown]
	v_add3_u32 v2, v5, v2, v7
	v_sub_u32_e32 v4, v4, v8
	v_mul_lo_u32 v8, v4, s14
	v_mul_lo_u32 v4, v4, s15
	v_add3_u32 v0, v6, v0, v3
	v_add3_u32 v2, v10, v2, v8
	;; [unrolled: 1-line block ×3, first 2 shown]
	s_cbranch_scc1 .LBB9_6
	s_branch .LBB9_10
.LBB9_7:
                                        ; implicit-def: $vgpr2
                                        ; implicit-def: $vgpr0
	s_branch .LBB9_14
.LBB9_8:
	v_mov_b32_e32 v2, 0
	v_mov_b32_e32 v0, 0
	s_branch .LBB9_13
.LBB9_9:
	s_mov_b32 s58, 0
	v_mov_b32_e32 v2, 0
	v_mov_b32_e32 v0, 0
	;; [unrolled: 1-line block ×3, first 2 shown]
.LBB9_10:
	s_and_b32 s8, s59, 3
	s_cmp_eq_u32 s8, 0
	s_cbranch_scc1 .LBB9_13
; %bb.11:
	s_lshl_b32 s0, s58, 3
	s_add_u32 s0, s34, s0
	s_addc_u32 s1, s35, 0
	s_add_u32 s0, s0, 0xc4
	s_addc_u32 s1, s1, 0
	s_mul_i32 s2, s58, 12
	s_add_u32 s2, s34, s2
	s_addc_u32 s3, s35, 0
.LBB9_12:                               ; =>This Inner Loop Header: Depth=1
	s_load_dwordx2 s[10:11], s[2:3], 0x4
	s_load_dword s9, s[2:3], 0xc
	s_load_dwordx2 s[12:13], s[0:1], 0x0
	s_add_u32 s2, s2, 12
	s_addc_u32 s3, s3, 0
	s_waitcnt lgkmcnt(0)
	v_mul_hi_u32 v3, s11, v1
	s_add_u32 s0, s0, 8
	s_addc_u32 s1, s1, 0
	s_add_i32 s8, s8, -1
	v_add_u32_e32 v3, v1, v3
	v_lshrrev_b32_e32 v4, s9, v3
	v_mul_lo_u32 v3, v4, s10
	s_cmp_lg_u32 s8, 0
	v_sub_u32_e32 v1, v1, v3
	v_mad_u64_u32 v[2:3], s[10:11], v1, s12, v[2:3]
	v_mad_u64_u32 v[0:1], s[10:11], v1, s13, v[0:1]
	v_mov_b32_e32 v1, v4
	s_cbranch_scc1 .LBB9_12
.LBB9_13:
	s_cbranch_execnz .LBB9_16
.LBB9_14:
	s_waitcnt lgkmcnt(0)
	v_mul_hi_u32 v0, s37, v11
	s_andn2_b64 vcc, exec, s[46:47]
	v_add_u32_e32 v0, v11, v0
	v_lshrrev_b32_e32 v1, s38, v0
	v_mul_lo_u32 v0, v1, s36
	v_sub_u32_e32 v0, v11, v0
	v_mul_lo_u32 v2, v0, s28
	v_mul_lo_u32 v0, v0, s29
	s_cbranch_vccnz .LBB9_16
; %bb.15:
	v_mul_hi_u32 v3, s6, v1
	v_add_u32_e32 v3, v1, v3
	v_lshrrev_b32_e32 v3, s7, v3
	v_mul_lo_u32 v3, v3, s39
	v_sub_u32_e32 v1, v1, v3
	v_mad_u64_u32 v[2:3], s[0:1], v1, s30, v[2:3]
	v_mad_u64_u32 v[0:1], s[0:1], v1, s31, v[0:1]
.LBB9_16:
	s_waitcnt lgkmcnt(0)
	v_mov_b32_e32 v1, s27
	s_and_b32 s12, 0xffff, s74
	v_add_co_u32_e32 v0, vcc, s26, v0
	s_cmp_lt_i32 s12, 11
	v_addc_co_u32_e32 v1, vcc, 0, v1, vcc
	s_cbranch_scc1 .LBB9_23
; %bb.17:
	s_cmp_gt_i32 s12, 25
	s_cbranch_scc0 .LBB9_40
; %bb.18:
	s_cmp_gt_i32 s12, 28
	s_cbranch_scc0 .LBB9_43
	;; [unrolled: 3-line block ×4, first 2 shown]
; %bb.21:
	s_cmp_eq_u32 s12, 46
	s_mov_b64 s[8:9], 0
	s_cbranch_scc0 .LBB9_49
; %bb.22:
	global_load_dword v3, v[0:1], off
	s_mov_b64 s[0:1], -1
	s_mov_b64 s[2:3], 0
	s_waitcnt vmcnt(0)
	v_lshlrev_b32_e32 v3, 16, v3
	v_cvt_f64_f32_e32 v[3:4], v3
	s_branch .LBB9_51
.LBB9_23:
	s_mov_b64 s[2:3], 0
                                        ; implicit-def: $vgpr3_vgpr4
	s_mov_b64 s[0:1], 0
	s_cbranch_execnz .LBB9_224
.LBB9_24:
	s_andn2_b64 vcc, exec, s[0:1]
	s_cbranch_vccnz .LBB9_271
.LBB9_25:
	s_waitcnt vmcnt(0)
	v_cmp_neq_f64_e32 vcc, 0, v[3:4]
	v_mov_b32_e32 v0, 0
	v_mov_b32_e32 v1, 0x7ff00000
	s_and_saveexec_b64 s[8:9], vcc
	s_cbranch_execz .LBB9_33
; %bb.26:
	v_cmp_ngt_f64_e32 vcc, 0, v[3:4]
	v_mov_b32_e32 v0, 0
	v_mov_b32_e32 v1, 0x7ff80000
	s_and_saveexec_b64 s[10:11], vcc
	s_cbranch_execz .LBB9_32
; %bb.27:
	v_cmp_ge_f64_e32 vcc, 2.0, v[3:4]
                                        ; implicit-def: $vgpr0_vgpr1
	s_and_saveexec_b64 s[0:1], vcc
	s_xor_b64 s[12:13], exec, s[0:1]
	s_cbranch_execz .LBB9_29
; %bb.28:
	v_fma_f64 v[0:1], v[3:4], 0.5, -2.0
	v_mov_b32_e32 v5, 0x977da589
	v_mov_b32_e32 v6, 0x3c833362
	s_mov_b32 s1, 0xbc545cb7
	s_mov_b32 s0, 0x2134d0ef
	;; [unrolled: 1-line block ×5, first 2 shown]
	v_fma_f64 v[5:6], v[0:1], s[0:1], v[5:6]
	s_mov_b32 s1, 0x3c545cb7
	s_mov_b32 s63, 0x3fd99999
	;; [unrolled: 1-line block ×7, first 2 shown]
	v_fma_f64 v[7:8], v[0:1], v[5:6], s[0:1]
	s_mov_b32 s0, 0x721ebbb4
	s_mov_b32 s1, 0xbcb184eb
	;; [unrolled: 1-line block ×7, first 2 shown]
	v_add_f64 v[7:8], v[7:8], s[0:1]
	s_mov_b32 s0, 0x93f65eba
	s_mov_b32 s1, 0x3cdee6d8
	;; [unrolled: 1-line block ×7, first 2 shown]
	v_fma_f64 v[5:6], v[0:1], v[7:8], -v[5:6]
	s_mov_b32 s19, 0x3f54b82e
	s_mov_b32 s16, 0x554a9085
	;; [unrolled: 1-line block ×3, first 2 shown]
	v_add_f64 v[5:6], v[5:6], s[0:1]
	s_mov_b32 s0, 0xc297fbeb
	s_mov_b32 s1, 0xbd0a5022
	v_fma_f64 v[7:8], v[0:1], v[5:6], -v[7:8]
	v_add_f64 v[7:8], v[7:8], s[0:1]
	s_mov_b32 s0, 0x4b262627
	s_mov_b32 s1, 0x3d359b46
	v_fma_f64 v[5:6], v[0:1], v[7:8], -v[5:6]
	;; [unrolled: 4-line block ×4, first 2 shown]
	v_add_f64 v[9:10], v[5:6], s[0:1]
	v_mul_f64 v[5:6], v[3:4], 0.5
	s_mov_b32 s1, 0x3fe55555
	s_mov_b32 s0, 0x55555555
	v_fma_f64 v[7:8], v[0:1], v[9:10], -v[7:8]
	v_frexp_mant_f64_e32 v[12:13], v[5:6]
	v_frexp_exp_i32_f64_e32 v32, v[5:6]
	v_add_f64 v[7:8], v[7:8], s[14:15]
	v_cmp_gt_f64_e32 vcc, s[0:1], v[12:13]
	s_mov_b32 s14, 0xcc743c10
	s_mov_b32 s15, 0x3dda98be
	;; [unrolled: 1-line block ×3, first 2 shown]
	v_fma_f64 v[9:10], v[0:1], v[7:8], -v[9:10]
	v_cndmask_b32_e64 v14, 0, 1, vcc
	v_ldexp_f64 v[12:13], v[12:13], v14
	v_subbrev_co_u32_e32 v32, vcc, 0, v32, vcc
	v_cvt_f64_i32_e32 v[32:33], v32
	v_add_f64 v[9:10], v[9:10], s[14:15]
	s_mov_b32 s14, 0x13ae9556
	v_add_f64 v[14:15], v[12:13], 1.0
	s_mov_b32 s15, 0xbe01d4fe
	v_add_f64 v[20:21], v[12:13], -1.0
	v_mul_f64 v[34:35], v[32:33], s[64:65]
	v_fma_f64 v[7:8], v[0:1], v[9:10], -v[7:8]
	v_rcp_f64_e32 v[16:17], v[14:15]
	v_add_f64 v[22:23], v[14:15], -1.0
	v_add_f64 v[7:8], v[7:8], s[14:15]
	s_mov_b32 s14, 0xa454cb34
	s_mov_b32 s15, 0x3e26d903
	v_add_f64 v[12:13], v[12:13], -v[22:23]
	v_fma_f64 v[9:10], v[0:1], v[7:8], -v[9:10]
	v_fma_f64 v[18:19], -v[14:15], v[16:17], 1.0
	v_fma_f64 v[16:17], v[18:19], v[16:17], v[16:17]
	v_add_f64 v[18:19], v[9:10], s[14:15]
	s_mov_b32 s14, 0x8c0b30ab
	s_mov_b32 s15, 0xbe4beaf6
	v_fma_f64 v[9:10], -v[14:15], v[16:17], 1.0
	v_fma_f64 v[7:8], v[0:1], v[18:19], -v[7:8]
	v_fma_f64 v[16:17], v[9:10], v[16:17], v[16:17]
	v_add_f64 v[7:8], v[7:8], s[14:15]
	s_mov_b32 s14, 0x9d4d6435
	s_mov_b32 s15, 0x3e703b76
	v_mul_f64 v[9:10], v[20:21], v[16:17]
	v_fma_f64 v[18:19], v[0:1], v[7:8], -v[18:19]
	v_mul_f64 v[24:25], v[14:15], v[9:10]
	v_add_f64 v[18:19], v[18:19], s[14:15]
	s_mov_b32 s14, 0x8f227f8d
	s_mov_b32 s15, 0xbe91ec63
	v_fma_f64 v[14:15], v[9:10], v[14:15], -v[24:25]
	v_fma_f64 v[7:8], v[0:1], v[18:19], -v[7:8]
	v_fma_f64 v[12:13], v[9:10], v[12:13], v[14:15]
	v_add_f64 v[7:8], v[7:8], s[14:15]
	s_mov_b32 s14, 0x978cf4ac
	s_mov_b32 s15, 0x3eb2bf24
	v_add_f64 v[14:15], v[24:25], v[12:13]
	v_fma_f64 v[18:19], v[0:1], v[7:8], -v[18:19]
	v_add_f64 v[22:23], v[20:21], -v[14:15]
	v_add_f64 v[18:19], v[18:19], s[14:15]
	v_add_f64 v[24:25], v[14:15], -v[24:25]
	s_mov_b32 s14, 0xcba56427
	s_mov_b32 s15, 0xbed2866f
	v_add_f64 v[20:21], v[20:21], -v[22:23]
	v_fma_f64 v[7:8], v[0:1], v[18:19], -v[7:8]
	v_add_f64 v[12:13], v[24:25], -v[12:13]
	v_mov_b32_e32 v24, 0x6b47b09a
	v_mov_b32_e32 v25, 0x3fc38538
	v_add_f64 v[14:15], v[20:21], -v[14:15]
	v_add_f64 v[7:8], v[7:8], s[14:15]
	s_mov_b32 s14, 0xbe9a2859
	s_mov_b32 s15, 0x3ef13f58
	v_add_f64 v[12:13], v[12:13], v[14:15]
	v_fma_f64 v[14:15], v[0:1], v[7:8], -v[18:19]
	v_mov_b32_e32 v18, 0xc384c2aa
	v_mov_b32_e32 v19, 0x3d27fb0a
	v_add_f64 v[12:13], v[22:23], v[12:13]
	v_add_f64 v[14:15], v[14:15], s[14:15]
	s_mov_b32 s14, 0x59c41d5a
	s_mov_b32 s15, 0xbf0e2b26
	v_mul_f64 v[12:13], v[16:17], v[12:13]
	v_fma_f64 v[16:17], v[0:1], v[14:15], -v[7:8]
	v_fma_f64 v[7:8], v[3:4], v[3:4], -2.0
	v_add_f64 v[20:21], v[9:10], v[12:13]
	v_add_f64 v[16:17], v[16:17], s[14:15]
	s_mov_b32 s14, 0xbf559e2b
	s_mov_b32 s15, 0x3fc3ab76
	v_fma_f64 v[18:19], v[7:8], s[54:55], v[18:19]
	s_mov_b32 s55, 0xbca3cee1
	v_mul_f64 v[22:23], v[20:21], v[20:21]
	v_fma_f64 v[14:15], v[0:1], v[16:17], -v[14:15]
	v_ldexp_f64 v[28:29], v[20:21], 1
	v_add_f64 v[9:10], v[20:21], -v[9:10]
	v_fma_f64 v[30:31], v[7:8], v[18:19], s[54:55]
	s_mov_b32 s54, 0xf121b6f0
	s_mov_b32 s55, 0xbf984e9e
	v_fma_f64 v[24:25], v[22:23], s[14:15], v[24:25]
	s_mov_b32 s14, 0x74107cab
	s_mov_b32 s15, 0x3f28b51b
	v_add_f64 v[14:15], v[14:15], s[14:15]
	s_mov_b32 s14, 0xd7f4df2e
	s_mov_b32 s15, 0x3fc7474d
	v_mul_f64 v[26:27], v[20:21], v[22:23]
	v_add_f64 v[30:31], v[30:31], s[58:59]
	v_fma_f64 v[24:25], v[22:23], v[24:25], s[14:15]
	s_mov_b32 s14, 0x16291751
	s_mov_b32 s15, 0x3fcc71c0
	v_fma_f64 v[16:17], v[0:1], v[14:15], -v[16:17]
	v_add_f64 v[12:13], v[12:13], -v[9:10]
	v_fma_f64 v[18:19], v[7:8], v[30:31], -v[18:19]
	v_fma_f64 v[24:25], v[22:23], v[24:25], s[14:15]
	s_mov_b32 s14, 0x1f15eb52
	s_mov_b32 s15, 0xbf42e2fd
	v_add_f64 v[16:17], v[16:17], s[14:15]
	s_mov_b32 s14, 0x9b27acf1
	s_mov_b32 s15, 0x3fd24924
	v_ldexp_f64 v[12:13], v[12:13], 1
	v_add_f64 v[18:19], v[18:19], s[52:53]
	v_fma_f64 v[24:25], v[22:23], v[24:25], s[14:15]
	s_mov_b32 s52, 0x623fde64
	s_mov_b32 s53, 0x3ec71dee
	v_fma_f64 v[14:15], v[0:1], v[16:17], -v[14:15]
	s_mov_b32 s14, 0x81213db9
	s_mov_b32 s15, 0x3fd608d8
	v_fma_f64 v[30:31], v[7:8], v[18:19], -v[30:31]
	v_fma_f64 v[24:25], v[22:23], v[24:25], s[62:63]
	s_mov_b32 s62, 0x8a12100e
	s_mov_b32 s63, 0x3f5adc75
	v_add_f64 v[14:15], v[14:15], s[62:63]
	s_mov_b32 s62, 0x652b82fe
	s_mov_b32 s63, 0x3ff71547
	v_add_f64 v[30:31], v[30:31], s[22:23]
	v_fma_f64 v[22:23], v[22:23], v[24:25], s[0:1]
	s_mov_b32 s0, 0x201aa849
	s_mov_b32 s1, 0xbf71b65e
	v_fma_f64 v[16:17], v[0:1], v[14:15], -v[16:17]
	v_mov_b32_e32 v24, 0xfca7ab0c
	v_mov_b32_e32 v25, 0x3e928af3
	s_mov_b32 s22, 0x14761f6e
	v_fma_f64 v[18:19], v[7:8], v[30:31], -v[18:19]
	v_mul_f64 v[22:23], v[26:27], v[22:23]
	v_mul_f64 v[26:27], v[3:4], s[62:63]
	s_mov_b32 s23, 0x3f2a01a0
	v_add_f64 v[16:17], v[16:17], s[0:1]
	s_mov_b32 s0, 0xf3dde3dd
	s_mov_b32 s1, 0x3f859961
	v_add_f64 v[18:19], v[18:19], s[20:21]
	v_add_f64 v[20:21], v[28:29], v[22:23]
	v_rndne_f64_e32 v[9:10], v[26:27]
	v_fma_f64 v[26:27], v[32:33], s[64:65], -v[34:35]
	v_fma_f64 v[14:15], v[0:1], v[16:17], -v[14:15]
	s_mov_b32 s65, 0xbfe62e42
	s_mov_b32 s20, 0x77ac88c0
	;; [unrolled: 1-line block ×3, first 2 shown]
	v_add_f64 v[28:29], v[20:21], -v[28:29]
	v_fma_f64 v[3:4], v[9:10], s[64:65], v[3:4]
	v_fma_f64 v[26:27], v[32:33], s[66:67], v[26:27]
	v_add_f64 v[14:15], v[14:15], s[0:1]
	s_mov_b32 s67, 0xbc7abc9e
	s_mov_b32 s0, 0x6a5dcb37
	;; [unrolled: 1-line block ×3, first 2 shown]
	v_add_f64 v[22:23], v[22:23], -v[28:29]
	v_fma_f64 v[3:4], v[9:10], s[66:67], v[3:4]
	v_fma_f64 v[16:17], v[0:1], v[14:15], -v[16:17]
	v_add_f64 v[12:13], v[12:13], v[22:23]
	v_add_f64 v[22:23], v[34:35], v[26:27]
	v_fma_f64 v[24:25], v[3:4], s[0:1], v[24:25]
	v_add_f64 v[16:17], v[16:17], s[54:55]
	s_mov_b32 s54, 0xcea8a32d
	s_mov_b32 s55, 0x3fa93e8a
	;; [unrolled: 1-line block ×4, first 2 shown]
	v_add_f64 v[28:29], v[20:21], v[12:13]
	v_add_f64 v[34:35], v[22:23], -v[34:35]
	v_fma_f64 v[24:25], v[3:4], v[24:25], s[52:53]
	v_fma_f64 v[14:15], v[0:1], v[16:17], -v[14:15]
	s_mov_b32 s52, 0x1852b7b0
	s_mov_b32 s53, 0x3f56c16c
	v_add_f64 v[32:33], v[22:23], v[28:29]
	v_add_f64 v[20:21], v[28:29], -v[20:21]
	v_fma_f64 v[24:25], v[3:4], v[24:25], s[0:1]
	v_add_f64 v[14:15], v[14:15], s[54:55]
	s_mov_b32 s0, 0x342d06ea
	s_mov_b32 s1, 0xbfb84b70
	v_add_f64 v[26:27], v[26:27], -v[34:35]
	v_add_f64 v[36:37], v[32:33], -v[22:23]
	;; [unrolled: 1-line block ×3, first 2 shown]
	v_fma_f64 v[24:25], v[3:4], v[24:25], s[22:23]
	v_fma_f64 v[16:17], v[0:1], v[14:15], -v[16:17]
	v_add_f64 v[38:39], v[32:33], -v[36:37]
	v_add_f64 v[20:21], v[28:29], -v[36:37]
	v_fma_f64 v[28:29], v[7:8], v[18:19], -v[30:31]
	v_add_f64 v[16:17], v[16:17], s[0:1]
	v_fma_f64 v[24:25], v[3:4], v[24:25], s[52:53]
	s_mov_b32 s0, 0x11122322
	s_mov_b32 s1, 0x3f811111
	v_add_f64 v[30:31], v[26:27], v[12:13]
	v_add_f64 v[22:23], v[22:23], -v[38:39]
	v_fma_f64 v[14:15], v[0:1], v[16:17], -v[14:15]
	v_fma_f64 v[24:25], v[3:4], v[24:25], s[0:1]
	s_mov_b32 s0, 0x555502a1
	s_mov_b32 s1, 0x3fa55555
	v_add_f64 v[20:21], v[20:21], v[22:23]
	v_add_f64 v[22:23], v[28:29], s[18:19]
	s_mov_b32 s18, 0x55555511
	v_add_f64 v[14:15], v[14:15], s[20:21]
	v_fma_f64 v[24:25], v[3:4], v[24:25], s[0:1]
	v_add_f64 v[28:29], v[30:31], -v[26:27]
	s_mov_b32 s0, 0xc057cd8d
	s_mov_b32 s19, 0x3fc55555
	v_add_f64 v[20:21], v[30:31], v[20:21]
	v_fma_f64 v[18:19], v[7:8], v[22:23], -v[18:19]
	s_mov_b32 s1, 0xbfd37feb
	v_fma_f64 v[16:17], v[0:1], v[14:15], -v[16:17]
	v_fma_f64 v[24:25], v[3:4], v[24:25], s[18:19]
	v_add_f64 v[30:31], v[30:31], -v[28:29]
	v_add_f64 v[12:13], v[12:13], -v[28:29]
	v_add_f64 v[34:35], v[32:33], v[20:21]
	v_add_f64 v[18:19], v[18:19], s[16:17]
	;; [unrolled: 1-line block ×3, first 2 shown]
	s_mov_b32 s0, 11
	s_mov_b32 s1, 0x3fe00000
	v_fma_f64 v[24:25], v[3:4], v[24:25], s[0:1]
	v_add_f64 v[26:27], v[26:27], -v[30:31]
	v_add_f64 v[28:29], v[34:35], -v[32:33]
	v_fma_f64 v[22:23], v[7:8], v[18:19], -v[22:23]
	s_mov_b32 s0, 0x9035a22a
	v_fma_f64 v[0:1], v[0:1], v[16:17], -v[14:15]
	s_mov_b32 s1, 0x3fe5a84e
	v_add_f64 v[12:13], v[12:13], v[26:27]
	v_add_f64 v[16:17], v[20:21], -v[28:29]
	v_add_f64 v[20:21], v[22:23], s[14:15]
	v_fma_f64 v[22:23], v[3:4], v[24:25], 1.0
	v_add_f64 v[0:1], v[0:1], s[0:1]
	s_mov_b32 s0, 0xe9d2f61f
	s_mov_b32 s1, 0xbfe12166
	v_add_f64 v[12:13], v[12:13], v[16:17]
	v_fma_f64 v[7:8], v[7:8], v[20:21], -v[18:19]
	v_fma_f64 v[3:4], v[3:4], v[22:23], 1.0
	v_add_f64 v[0:1], v[0:1], -v[14:15]
	v_cvt_i32_f64_e32 v14, v[9:10]
	v_add_f64 v[9:10], v[34:35], v[12:13]
	v_add_f64 v[7:8], v[7:8], s[0:1]
	v_ldexp_f64 v[3:4], v[3:4], v14
	v_mul_f64 v[0:1], v[0:1], 0.5
	s_mov_b32 s0, 0
	s_mov_b32 s1, 0x7ff00000
	v_cmp_neq_f64_e32 vcc, s[0:1], v[5:6]
	v_cmp_neq_f64_e64 s[0:1], 0, v[5:6]
	v_mov_b32_e32 v12, 0x7ff00000
	v_add_f64 v[5:6], v[7:8], -v[18:19]
	v_mul_f64 v[0:1], v[3:4], v[0:1]
	v_cndmask_b32_e32 v10, v12, v10, vcc
	v_mov_b32_e32 v12, 0xfff00000
	s_and_b64 vcc, s[0:1], vcc
	v_cndmask_b32_e64 v8, v12, v10, s[0:1]
	v_cndmask_b32_e32 v7, 0, v9, vcc
	v_mul_f64 v[0:1], v[7:8], v[0:1]
	v_fma_f64 v[0:1], v[5:6], 0.5, -v[0:1]
	v_mul_f64 v[0:1], v[3:4], v[0:1]
                                        ; implicit-def: $vgpr3_vgpr4
.LBB9_29:
	s_andn2_saveexec_b64 s[0:1], s[12:13]
	s_cbranch_execz .LBB9_31
; %bb.30:
	s_mov_b32 s12, 0
	s_mov_b32 s13, 0x40200000
	v_div_scale_f64 v[0:1], s[14:15], v[3:4], v[3:4], s[12:13]
	v_rcp_f64_e32 v[5:6], v[0:1]
	v_fma_f64 v[7:8], -v[0:1], v[5:6], 1.0
	v_fma_f64 v[5:6], v[5:6], v[7:8], v[5:6]
	v_div_scale_f64 v[7:8], vcc, s[12:13], v[3:4], s[12:13]
	v_fma_f64 v[9:10], -v[0:1], v[5:6], 1.0
	v_fma_f64 v[5:6], v[5:6], v[9:10], v[5:6]
	v_mul_f64 v[9:10], v[7:8], v[5:6]
	v_fma_f64 v[0:1], -v[0:1], v[9:10], v[7:8]
	v_div_fmas_f64 v[0:1], v[0:1], v[5:6], v[9:10]
	v_mov_b32_e32 v5, 0x93812603
	v_mov_b32_e32 v6, 0xbc72fecc
	;; [unrolled: 1-line block ×3, first 2 shown]
	v_div_fixup_f64 v[0:1], v[0:1], v[3:4], s[12:13]
	s_mov_b32 s13, 0x3c5871a5
	s_mov_b32 s12, 0xcf8c9ee1
	v_add_f64 v[0:1], v[0:1], -2.0
	v_fma_f64 v[5:6], v[0:1], s[12:13], v[5:6]
	s_mov_b32 s13, 0xbc5871a5
	v_fma_f64 v[7:8], v[0:1], v[5:6], s[12:13]
	s_mov_b32 s12, 0x41a8cdf4
	s_mov_b32 s13, 0x3c8e092e
	v_add_f64 v[7:8], v[7:8], s[12:13]
	s_mov_b32 s12, 0x74d77641
	s_mov_b32 s13, 0xbca82f94
	v_fma_f64 v[5:6], v[0:1], v[7:8], -v[5:6]
	v_add_f64 v[5:6], v[5:6], s[12:13]
	s_mov_b32 s12, 0x6b94785b
	s_mov_b32 s13, 0x3cc3dbf9
	v_fma_f64 v[7:8], v[0:1], v[5:6], -v[7:8]
	;; [unrolled: 4-line block ×17, first 2 shown]
	v_add_f64 v[5:6], v[5:6], s[12:13]
	s_mov_b32 s12, 0
	s_brev_b32 s13, 8
	v_cmp_gt_f64_e32 vcc, s[12:13], v[3:4]
	s_mov_b32 s12, 0xcc7470a9
	s_mov_b32 s13, 0x3eed413f
	v_fma_f64 v[7:8], v[0:1], v[5:6], -v[7:8]
	v_cndmask_b32_e32 v9, 0, v9, vcc
	v_ldexp_f64 v[3:4], v[3:4], v9
	v_add_f64 v[7:8], v[7:8], s[12:13]
	s_mov_b32 s12, 0xe7889f42
	s_mov_b32 s13, 0xbf20d797
	v_rsq_f64_e32 v[9:10], v[3:4]
	v_fma_f64 v[5:6], v[0:1], v[7:8], -v[5:6]
	v_add_f64 v[5:6], v[5:6], s[12:13]
	s_mov_b32 s12, 0xfca79342
	s_mov_b32 s13, 0x3f59b891
	v_mul_f64 v[12:13], v[3:4], v[9:10]
	v_mul_f64 v[9:10], v[9:10], 0.5
	v_fma_f64 v[7:8], v[0:1], v[5:6], -v[7:8]
	v_fma_f64 v[14:15], -v[9:10], v[12:13], 0.5
	v_add_f64 v[7:8], v[7:8], s[12:13]
	s_mov_b32 s12, 0x2d4ff71e
	s_mov_b32 s13, 0xbfa019f7
	v_fma_f64 v[12:13], v[12:13], v[14:15], v[12:13]
	v_fma_f64 v[9:10], v[9:10], v[14:15], v[9:10]
	v_fma_f64 v[5:6], v[0:1], v[7:8], -v[5:6]
	v_fma_f64 v[14:15], -v[12:13], v[12:13], v[3:4]
	v_add_f64 v[5:6], v[5:6], s[12:13]
	s_mov_b32 s12, 0x9f4e6907
	s_mov_b32 s13, 0x400385bd
	v_fma_f64 v[12:13], v[14:15], v[9:10], v[12:13]
	v_fma_f64 v[0:1], v[0:1], v[5:6], -v[7:8]
	v_fma_f64 v[5:6], -v[12:13], v[12:13], v[3:4]
	v_add_f64 v[0:1], v[0:1], s[12:13]
	v_fma_f64 v[5:6], v[5:6], v[9:10], v[12:13]
	v_add_f64 v[0:1], v[0:1], -v[7:8]
	v_mov_b32_e32 v7, 0xffffff80
	v_mov_b32_e32 v8, 0x260
	v_cndmask_b32_e32 v7, 0, v7, vcc
	v_cmp_class_f64_e32 vcc, v[3:4], v8
	v_ldexp_f64 v[5:6], v[5:6], v7
	v_mul_f64 v[0:1], v[0:1], 0.5
	v_cndmask_b32_e32 v4, v6, v4, vcc
	v_cndmask_b32_e32 v3, v5, v3, vcc
	v_div_scale_f64 v[5:6], s[12:13], v[3:4], v[3:4], v[0:1]
	v_div_scale_f64 v[12:13], vcc, v[0:1], v[3:4], v[0:1]
	v_rcp_f64_e32 v[7:8], v[5:6]
	v_fma_f64 v[9:10], -v[5:6], v[7:8], 1.0
	v_fma_f64 v[7:8], v[7:8], v[9:10], v[7:8]
	v_fma_f64 v[9:10], -v[5:6], v[7:8], 1.0
	v_fma_f64 v[7:8], v[7:8], v[9:10], v[7:8]
	v_mul_f64 v[9:10], v[12:13], v[7:8]
	v_fma_f64 v[5:6], -v[5:6], v[9:10], v[12:13]
	v_div_fmas_f64 v[5:6], v[5:6], v[7:8], v[9:10]
	v_div_fixup_f64 v[0:1], v[5:6], v[3:4], v[0:1]
.LBB9_31:
	s_or_b64 exec, exec, s[0:1]
.LBB9_32:
	s_or_b64 exec, exec, s[10:11]
.LBB9_33:
	s_or_b64 exec, exec, s[8:9]
	v_mov_b32_e32 v3, s25
	s_and_b32 s14, s73, 0xff
	v_add_co_u32_e32 v4, vcc, s24, v2
	s_cmp_lt_i32 s14, 11
	v_addc_co_u32_e32 v5, vcc, 0, v3, vcc
	s_cbranch_scc1 .LBB9_41
; %bb.34:
	s_and_b32 s15, 0xffff, s14
	s_cmp_gt_i32 s15, 25
	s_cbranch_scc0 .LBB9_44
; %bb.35:
	s_cmp_gt_i32 s15, 28
	s_cbranch_scc0 .LBB9_46
; %bb.36:
	;; [unrolled: 3-line block ×4, first 2 shown]
	s_mov_b64 s[10:11], 0
	s_mov_b64 s[0:1], -1
	s_cmp_eq_u32 s15, 46
	s_mov_b64 s[8:9], 0
	s_cbranch_scc0 .LBB9_55
; %bb.39:
	v_cvt_f32_f64_e32 v2, v[0:1]
	s_movk_i32 s0, 0x7fff
	v_mov_b32_e32 v3, 0x7fc0
	s_mov_b64 s[8:9], -1
	v_bfe_u32 v6, v2, 16, 1
	v_cmp_o_f32_e32 vcc, v2, v2
	v_add3_u32 v2, v2, v6, s0
	v_cndmask_b32_sdwa v2, v3, v2, vcc dst_sel:DWORD dst_unused:UNUSED_PAD src0_sel:DWORD src1_sel:WORD_1
	global_store_dword v[4:5], v2, off
	s_mov_b64 s[0:1], 0
	s_branch .LBB9_55
.LBB9_40:
	s_mov_b64 s[2:3], 0
	s_mov_b64 s[0:1], 0
                                        ; implicit-def: $vgpr3_vgpr4
	s_cbranch_execnz .LBB9_191
	s_branch .LBB9_223
.LBB9_41:
	s_mov_b64 s[0:1], 0
	s_mov_b64 s[8:9], 0
	s_cbranch_execnz .LBB9_124
.LBB9_42:
	s_andn2_b64 vcc, exec, s[8:9]
	s_cbranch_vccnz .LBB9_272
	s_branch .LBB9_162
.LBB9_43:
	s_mov_b64 s[8:9], -1
	s_mov_b64 s[2:3], 0
	s_mov_b64 s[0:1], 0
                                        ; implicit-def: $vgpr3_vgpr4
	s_branch .LBB9_170
.LBB9_44:
	s_mov_b64 s[10:11], -1
	s_mov_b64 s[0:1], 0
	s_mov_b64 s[8:9], 0
	s_branch .LBB9_82
.LBB9_45:
	s_mov_b64 s[8:9], -1
	s_mov_b64 s[2:3], 0
	s_mov_b64 s[0:1], 0
                                        ; implicit-def: $vgpr3_vgpr4
	s_branch .LBB9_165
.LBB9_46:
	s_mov_b64 s[10:11], -1
	s_mov_b64 s[0:1], 0
	s_mov_b64 s[8:9], 0
	s_branch .LBB9_65
.LBB9_47:
	s_mov_b64 s[8:9], -1
	s_mov_b64 s[2:3], 0
	s_branch .LBB9_50
.LBB9_48:
	s_mov_b64 s[10:11], -1
	s_mov_b64 s[0:1], 0
	s_mov_b64 s[8:9], 0
	s_branch .LBB9_61
.LBB9_49:
	s_mov_b64 s[2:3], -1
.LBB9_50:
	s_mov_b64 s[0:1], 0
                                        ; implicit-def: $vgpr3_vgpr4
.LBB9_51:
	s_and_b64 vcc, exec, s[8:9]
	s_cbranch_vccz .LBB9_164
; %bb.52:
	s_cmp_eq_u32 s12, 44
	s_cbranch_scc0 .LBB9_163
; %bb.53:
	global_load_ubyte v5, v[0:1], off
	s_movk_i32 s2, 0xff
	v_bfrev_b32_e32 v6, 4
	v_mov_b32_e32 v7, 0x7ff80000
	v_bfrev_b32_e32 v8, 28
	s_mov_b64 s[0:1], -1
	s_waitcnt vmcnt(0)
	v_lshlrev_b32_e32 v3, 23, v5
	v_cvt_f64_f32_e32 v[3:4], v3
	v_cmp_ne_u32_e32 vcc, s2, v5
	s_mov_b64 s[2:3], 0
	v_cndmask_b32_e32 v3, v6, v3, vcc
	v_cndmask_b32_e32 v4, v7, v4, vcc
	v_cmp_ne_u32_e32 vcc, 0, v5
	v_cndmask_b32_e32 v4, v8, v4, vcc
	v_cndmask_b32_e32 v3, 0, v3, vcc
	s_branch .LBB9_164
.LBB9_54:
	s_mov_b64 s[10:11], -1
	s_mov_b64 s[0:1], 0
	s_mov_b64 s[8:9], 0
.LBB9_55:
	s_and_b64 vcc, exec, s[10:11]
	s_cbranch_vccz .LBB9_60
; %bb.56:
	s_cmp_eq_u32 s15, 44
	s_mov_b64 s[0:1], -1
	s_cbranch_scc0 .LBB9_60
; %bb.57:
	v_cvt_f32_f64_e32 v2, v[0:1]
	s_movk_i32 s0, 0xff
	v_mov_b32_e32 v6, 0xff
	v_bfe_u32 v3, v2, 23, 8
	v_cmp_ne_u32_e32 vcc, s0, v3
	s_and_saveexec_b64 s[8:9], vcc
; %bb.58:
	s_mov_b32 s0, 0x3fffff
	v_lshrrev_b32_e32 v6, 23, v2
	v_and_b32_e32 v7, 0x400000, v2
	v_and_or_b32 v2, v2, s0, v3
	v_cmp_ne_u32_e32 vcc, 0, v7
	v_cmp_ne_u32_e64 s[0:1], 0, v2
	s_and_b64 s[0:1], vcc, s[0:1]
	v_cndmask_b32_e64 v2, 0, 1, s[0:1]
	v_add_u32_e32 v6, v6, v2
; %bb.59:
	s_or_b64 exec, exec, s[8:9]
	s_mov_b64 s[8:9], -1
	s_mov_b64 s[0:1], 0
	global_store_byte v[4:5], v6, off
.LBB9_60:
	s_mov_b64 s[10:11], 0
.LBB9_61:
	s_and_b64 vcc, exec, s[10:11]
	s_cbranch_vccz .LBB9_64
; %bb.62:
	s_cmp_eq_u32 s15, 29
	s_mov_b64 s[0:1], -1
	s_cbranch_scc0 .LBB9_64
; %bb.63:
	v_trunc_f64_e32 v[2:3], v[0:1]
	s_movk_i32 s0, 0xffe0
	s_mov_b64 s[8:9], -1
	s_mov_b64 s[10:11], 0
	v_ldexp_f64 v[6:7], v[2:3], s0
	s_mov_b32 s0, 0
	s_mov_b32 s1, 0xc1f00000
	v_floor_f64_e32 v[6:7], v[6:7]
	v_fma_f64 v[2:3], v[6:7], s[0:1], v[2:3]
	v_cvt_u32_f64_e32 v7, v[6:7]
	s_mov_b64 s[0:1], 0
	v_cvt_u32_f64_e32 v6, v[2:3]
	global_store_dwordx2 v[4:5], v[6:7], off
	s_branch .LBB9_65
.LBB9_64:
	s_mov_b64 s[10:11], 0
.LBB9_65:
	s_and_b64 vcc, exec, s[10:11]
	s_cbranch_vccz .LBB9_81
; %bb.66:
	s_cmp_lt_i32 s15, 27
	s_mov_b64 s[8:9], -1
	s_cbranch_scc1 .LBB9_72
; %bb.67:
	v_cvt_u32_f64_e32 v2, v[0:1]
	s_cmp_gt_i32 s15, 27
	s_cbranch_scc0 .LBB9_69
; %bb.68:
	s_mov_b64 s[8:9], 0
	global_store_dword v[4:5], v2, off
.LBB9_69:
	s_andn2_b64 vcc, exec, s[8:9]
	s_cbranch_vccnz .LBB9_71
; %bb.70:
	global_store_short v[4:5], v2, off
.LBB9_71:
	s_mov_b64 s[8:9], 0
.LBB9_72:
	s_andn2_b64 vcc, exec, s[8:9]
	s_cbranch_vccnz .LBB9_80
; %bb.73:
	v_cvt_f32_f64_e32 v2, v[0:1]
	s_mov_b32 s8, 0x43800000
	v_mov_b32_e32 v6, 0x80
	v_and_b32_e32 v3, 0x7fffffff, v2
	v_cmp_gt_u32_e32 vcc, s8, v3
	s_and_saveexec_b64 s[8:9], vcc
	s_cbranch_execz .LBB9_79
; %bb.74:
	s_mov_b32 s10, 0x3bffffff
	v_cmp_lt_u32_e32 vcc, s10, v3
	s_mov_b64 s[10:11], 0
                                        ; implicit-def: $vgpr3
	s_and_saveexec_b64 s[12:13], vcc
	s_xor_b64 s[12:13], exec, s[12:13]
	s_cbranch_execz .LBB9_323
; %bb.75:
	v_bfe_u32 v3, v2, 20, 1
	s_mov_b32 s16, 0x487ffff
	v_add3_u32 v3, v2, v3, s16
	s_mov_b64 s[10:11], exec
	v_lshrrev_b32_e32 v3, 20, v3
	s_andn2_saveexec_b64 s[12:13], s[12:13]
	s_cbranch_execnz .LBB9_324
.LBB9_76:
	s_or_b64 exec, exec, s[12:13]
	v_mov_b32_e32 v6, 0
	s_and_saveexec_b64 s[12:13], s[10:11]
.LBB9_77:
	v_lshrrev_b32_e32 v2, 24, v2
	s_movk_i32 s10, 0x80
	v_and_or_b32 v6, v2, s10, v3
.LBB9_78:
	s_or_b64 exec, exec, s[12:13]
.LBB9_79:
	s_or_b64 exec, exec, s[8:9]
	global_store_byte v[4:5], v6, off
.LBB9_80:
	s_mov_b64 s[8:9], -1
.LBB9_81:
	s_mov_b64 s[10:11], 0
.LBB9_82:
	s_and_b64 vcc, exec, s[10:11]
	s_cbranch_vccz .LBB9_123
; %bb.83:
	s_cmp_gt_i32 s15, 22
	s_mov_b64 s[10:11], -1
	s_cbranch_scc0 .LBB9_115
; %bb.84:
	s_cmp_lt_i32 s15, 24
	s_mov_b64 s[8:9], -1
	s_cbranch_scc1 .LBB9_104
; %bb.85:
	s_cmp_gt_i32 s15, 24
	s_cbranch_scc0 .LBB9_93
; %bb.86:
	v_cvt_f32_f64_e32 v2, v[0:1]
	s_mov_b32 s8, 0x47800000
	v_mov_b32_e32 v6, 0x80
	v_and_b32_e32 v3, 0x7fffffff, v2
	v_cmp_gt_u32_e32 vcc, s8, v3
	s_and_saveexec_b64 s[8:9], vcc
	s_cbranch_execz .LBB9_92
; %bb.87:
	s_mov_b32 s10, 0x37ffffff
	v_cmp_lt_u32_e32 vcc, s10, v3
	s_mov_b64 s[10:11], 0
                                        ; implicit-def: $vgpr3
	s_and_saveexec_b64 s[12:13], vcc
	s_xor_b64 s[12:13], exec, s[12:13]
	s_cbranch_execz .LBB9_327
; %bb.88:
	v_bfe_u32 v3, v2, 21, 1
	s_mov_b32 s16, 0x88fffff
	v_add3_u32 v3, v2, v3, s16
	s_mov_b64 s[10:11], exec
	v_lshrrev_b32_e32 v3, 21, v3
	s_andn2_saveexec_b64 s[12:13], s[12:13]
	s_cbranch_execnz .LBB9_328
.LBB9_89:
	s_or_b64 exec, exec, s[12:13]
	v_mov_b32_e32 v6, 0
	s_and_saveexec_b64 s[12:13], s[10:11]
.LBB9_90:
	v_lshrrev_b32_e32 v2, 24, v2
	s_movk_i32 s10, 0x80
	v_and_or_b32 v6, v2, s10, v3
.LBB9_91:
	s_or_b64 exec, exec, s[12:13]
.LBB9_92:
	s_or_b64 exec, exec, s[8:9]
	s_mov_b64 s[8:9], 0
	global_store_byte v[4:5], v6, off
.LBB9_93:
	s_and_b64 vcc, exec, s[8:9]
	s_cbranch_vccz .LBB9_103
; %bb.94:
	v_cvt_f32_f64_e32 v2, v[0:1]
	s_mov_b32 s8, 0x43f00000
                                        ; implicit-def: $vgpr3
	v_and_b32_e32 v6, 0x7fffffff, v2
	v_cmp_gt_u32_e32 vcc, s8, v6
	s_and_saveexec_b64 s[8:9], vcc
	s_xor_b64 s[8:9], exec, s[8:9]
	s_cbranch_execz .LBB9_100
; %bb.95:
	s_mov_b32 s10, 0x3c7fffff
	v_cmp_lt_u32_e32 vcc, s10, v6
                                        ; implicit-def: $vgpr3
	s_and_saveexec_b64 s[10:11], vcc
	s_xor_b64 s[10:11], exec, s[10:11]
; %bb.96:
	v_bfe_u32 v3, v2, 20, 1
	s_mov_b32 s12, 0x407ffff
	v_add3_u32 v3, v2, v3, s12
	v_lshrrev_b32_e32 v6, 20, v3
	v_and_b32_e32 v3, 0xff00000, v3
	s_mov_b32 s12, 0x7f00000
	v_mov_b32_e32 v7, 0x7e
	v_cmp_ne_u32_e32 vcc, s12, v3
	v_cndmask_b32_e32 v3, v7, v6, vcc
; %bb.97:
	s_andn2_saveexec_b64 s[10:11], s[10:11]
; %bb.98:
	s_mov_b32 s12, 0x46800000
	v_add_f32_e64 v3, |v2|, s12
; %bb.99:
	s_or_b64 exec, exec, s[10:11]
                                        ; implicit-def: $vgpr6
.LBB9_100:
	s_andn2_saveexec_b64 s[8:9], s[8:9]
; %bb.101:
	s_mov_b32 s10, 0x7f800000
	v_mov_b32_e32 v3, 0x7e
	v_mov_b32_e32 v7, 0x7f
	v_cmp_lt_u32_e32 vcc, s10, v6
	v_cndmask_b32_e32 v3, v3, v7, vcc
; %bb.102:
	s_or_b64 exec, exec, s[8:9]
	v_lshrrev_b32_e32 v2, 24, v2
	s_movk_i32 s8, 0x80
	v_and_or_b32 v2, v2, s8, v3
	global_store_byte v[4:5], v2, off
.LBB9_103:
	s_mov_b64 s[8:9], 0
.LBB9_104:
	s_andn2_b64 vcc, exec, s[8:9]
	s_cbranch_vccnz .LBB9_114
; %bb.105:
	v_cvt_f32_f64_e32 v2, v[0:1]
	s_mov_b32 s8, 0x47800000
                                        ; implicit-def: $vgpr3
	v_and_b32_e32 v6, 0x7fffffff, v2
	v_cmp_gt_u32_e32 vcc, s8, v6
	s_and_saveexec_b64 s[8:9], vcc
	s_xor_b64 s[8:9], exec, s[8:9]
	s_cbranch_execz .LBB9_111
; %bb.106:
	s_mov_b32 s10, 0x387fffff
	v_cmp_lt_u32_e32 vcc, s10, v6
                                        ; implicit-def: $vgpr3
	s_and_saveexec_b64 s[10:11], vcc
	s_xor_b64 s[10:11], exec, s[10:11]
; %bb.107:
	v_bfe_u32 v3, v2, 21, 1
	s_mov_b32 s12, 0x80fffff
	v_add3_u32 v3, v2, v3, s12
	v_lshrrev_b32_e32 v3, 21, v3
; %bb.108:
	s_andn2_saveexec_b64 s[10:11], s[10:11]
; %bb.109:
	s_mov_b32 s12, 0x43000000
	v_add_f32_e64 v3, |v2|, s12
; %bb.110:
	s_or_b64 exec, exec, s[10:11]
                                        ; implicit-def: $vgpr6
.LBB9_111:
	s_andn2_saveexec_b64 s[8:9], s[8:9]
; %bb.112:
	s_mov_b32 s10, 0x7f800000
	v_mov_b32_e32 v3, 0x7c
	v_mov_b32_e32 v7, 0x7f
	v_cmp_lt_u32_e32 vcc, s10, v6
	v_cndmask_b32_e32 v3, v3, v7, vcc
; %bb.113:
	s_or_b64 exec, exec, s[8:9]
	v_lshrrev_b32_e32 v2, 24, v2
	s_movk_i32 s8, 0x80
	v_and_or_b32 v2, v2, s8, v3
	global_store_byte v[4:5], v2, off
.LBB9_114:
	s_mov_b64 s[10:11], 0
	s_mov_b64 s[8:9], -1
.LBB9_115:
	s_andn2_b64 vcc, exec, s[10:11]
	s_cbranch_vccnz .LBB9_123
; %bb.116:
	s_cmp_gt_i32 s15, 14
	s_mov_b64 s[10:11], -1
	s_cbranch_scc0 .LBB9_120
; %bb.117:
	s_cmp_eq_u32 s15, 15
	s_mov_b64 s[0:1], -1
	s_cbranch_scc0 .LBB9_119
; %bb.118:
	v_cvt_f32_f64_e32 v2, v[0:1]
	s_movk_i32 s0, 0x7fff
	v_mov_b32_e32 v3, 0x7fc0
	s_mov_b64 s[8:9], -1
	v_bfe_u32 v6, v2, 16, 1
	v_cmp_o_f32_e32 vcc, v2, v2
	v_add3_u32 v2, v2, v6, s0
	v_cndmask_b32_sdwa v2, v3, v2, vcc dst_sel:DWORD dst_unused:UNUSED_PAD src0_sel:DWORD src1_sel:WORD_1
	global_store_short v[4:5], v2, off
	s_mov_b64 s[0:1], 0
.LBB9_119:
	s_mov_b64 s[10:11], 0
.LBB9_120:
	s_and_b64 vcc, exec, s[10:11]
	s_cbranch_vccz .LBB9_123
; %bb.121:
	s_cmp_eq_u32 s15, 11
	s_mov_b64 s[0:1], -1
	s_cbranch_scc0 .LBB9_123
; %bb.122:
	v_cmp_neq_f64_e32 vcc, 0, v[0:1]
	s_mov_b64 s[0:1], 0
	s_mov_b64 s[8:9], -1
	v_cndmask_b32_e64 v2, 0, 1, vcc
	global_store_byte v[4:5], v2, off
.LBB9_123:
	s_branch .LBB9_42
.LBB9_124:
	s_and_b32 s10, 0xffff, s14
	s_cmp_lt_i32 s10, 5
	s_mov_b64 s[8:9], -1
	s_cbranch_scc1 .LBB9_145
; %bb.125:
	s_cmp_lt_i32 s10, 8
	s_cbranch_scc1 .LBB9_135
; %bb.126:
	s_cmp_lt_i32 s10, 9
	s_cbranch_scc1 .LBB9_132
; %bb.127:
	s_cmp_gt_i32 s10, 9
	s_cbranch_scc0 .LBB9_129
; %bb.128:
	v_mov_b32_e32 v2, 0
	v_mov_b32_e32 v3, v2
	global_store_dwordx4 v[4:5], v[0:3], off
	s_mov_b64 s[8:9], 0
.LBB9_129:
	s_andn2_b64 vcc, exec, s[8:9]
	s_cbranch_vccnz .LBB9_131
; %bb.130:
	v_cvt_f32_f64_e32 v2, v[0:1]
	v_mov_b32_e32 v3, 0
	global_store_dwordx2 v[4:5], v[2:3], off
.LBB9_131:
	s_mov_b64 s[8:9], 0
.LBB9_132:
	s_andn2_b64 vcc, exec, s[8:9]
	s_cbranch_vccnz .LBB9_134
; %bb.133:
	s_movk_i32 s8, 0x1ff
	v_and_or_b32 v2, v1, s8, v0
	v_cmp_ne_u32_e32 vcc, 0, v2
	v_cndmask_b32_e64 v2, 0, 1, vcc
	v_lshrrev_b32_e32 v3, 8, v1
	s_movk_i32 s8, 0xffe
	v_bfe_u32 v6, v1, 20, 11
	v_and_or_b32 v2, v3, s8, v2
	v_sub_u32_e32 v7, 0x3f1, v6
	v_or_b32_e32 v3, 0x1000, v2
	v_med3_i32 v7, v7, 0, 13
	v_lshrrev_b32_e32 v8, v7, v3
	v_lshlrev_b32_e32 v7, v7, v8
	v_cmp_ne_u32_e32 vcc, v7, v3
	v_cndmask_b32_e64 v3, 0, 1, vcc
	v_add_u32_e32 v6, 0xfffffc10, v6
	v_or_b32_e32 v3, v8, v3
	v_lshl_or_b32 v7, v6, 12, v2
	v_cmp_gt_i32_e32 vcc, 1, v6
	v_cndmask_b32_e32 v3, v7, v3, vcc
	v_and_b32_e32 v7, 7, v3
	v_cmp_lt_i32_e32 vcc, 5, v7
	v_cndmask_b32_e64 v8, 0, 1, vcc
	v_cmp_eq_u32_e32 vcc, 3, v7
	v_cndmask_b32_e64 v7, 0, 1, vcc
	v_or_b32_e32 v7, v7, v8
	v_lshrrev_b32_e32 v3, 2, v3
	v_add_u32_e32 v3, v3, v7
	v_mov_b32_e32 v7, 0x7c00
	v_cmp_gt_i32_e32 vcc, 31, v6
	v_cndmask_b32_e32 v3, v7, v3, vcc
	v_mov_b32_e32 v8, 0x7e00
	v_cmp_ne_u32_e32 vcc, 0, v2
	s_movk_i32 s8, 0x40f
	v_cndmask_b32_e32 v2, v7, v8, vcc
	v_cmp_eq_u32_e32 vcc, s8, v6
	v_cndmask_b32_e32 v2, v3, v2, vcc
	v_lshrrev_b32_e32 v3, 16, v1
	s_mov_b32 s8, 0x8000
	v_and_or_b32 v2, v3, s8, v2
	v_and_b32_e32 v2, 0xffff, v2
	global_store_dword v[4:5], v2, off
.LBB9_134:
	s_mov_b64 s[8:9], 0
.LBB9_135:
	s_andn2_b64 vcc, exec, s[8:9]
	s_cbranch_vccnz .LBB9_144
; %bb.136:
	s_cmp_lt_i32 s10, 6
	s_mov_b64 s[8:9], -1
	s_cbranch_scc1 .LBB9_142
; %bb.137:
	s_cmp_gt_i32 s10, 6
	s_cbranch_scc0 .LBB9_139
; %bb.138:
	global_store_dwordx2 v[4:5], v[0:1], off
	s_mov_b64 s[8:9], 0
.LBB9_139:
	s_andn2_b64 vcc, exec, s[8:9]
	s_cbranch_vccnz .LBB9_141
; %bb.140:
	v_cvt_f32_f64_e32 v2, v[0:1]
	global_store_dword v[4:5], v2, off
.LBB9_141:
	s_mov_b64 s[8:9], 0
.LBB9_142:
	s_andn2_b64 vcc, exec, s[8:9]
	s_cbranch_vccnz .LBB9_144
; %bb.143:
	s_movk_i32 s8, 0x1ff
	v_and_or_b32 v2, v1, s8, v0
	v_cmp_ne_u32_e32 vcc, 0, v2
	v_cndmask_b32_e64 v2, 0, 1, vcc
	v_lshrrev_b32_e32 v3, 8, v1
	s_movk_i32 s8, 0xffe
	v_bfe_u32 v6, v1, 20, 11
	v_and_or_b32 v2, v3, s8, v2
	v_sub_u32_e32 v7, 0x3f1, v6
	v_or_b32_e32 v3, 0x1000, v2
	v_med3_i32 v7, v7, 0, 13
	v_lshrrev_b32_e32 v8, v7, v3
	v_lshlrev_b32_e32 v7, v7, v8
	v_cmp_ne_u32_e32 vcc, v7, v3
	v_cndmask_b32_e64 v3, 0, 1, vcc
	v_add_u32_e32 v6, 0xfffffc10, v6
	v_or_b32_e32 v3, v8, v3
	v_lshl_or_b32 v7, v6, 12, v2
	v_cmp_gt_i32_e32 vcc, 1, v6
	v_cndmask_b32_e32 v3, v7, v3, vcc
	v_and_b32_e32 v7, 7, v3
	v_cmp_lt_i32_e32 vcc, 5, v7
	v_cndmask_b32_e64 v8, 0, 1, vcc
	v_cmp_eq_u32_e32 vcc, 3, v7
	v_cndmask_b32_e64 v7, 0, 1, vcc
	v_or_b32_e32 v7, v7, v8
	v_lshrrev_b32_e32 v3, 2, v3
	v_add_u32_e32 v3, v3, v7
	v_mov_b32_e32 v7, 0x7c00
	v_cmp_gt_i32_e32 vcc, 31, v6
	v_cndmask_b32_e32 v3, v7, v3, vcc
	v_mov_b32_e32 v8, 0x7e00
	v_cmp_ne_u32_e32 vcc, 0, v2
	s_movk_i32 s8, 0x40f
	v_cndmask_b32_e32 v2, v7, v8, vcc
	v_cmp_eq_u32_e32 vcc, s8, v6
	v_cndmask_b32_e32 v2, v3, v2, vcc
	v_lshrrev_b32_e32 v3, 16, v1
	s_mov_b32 s8, 0x8000
	v_and_or_b32 v2, v3, s8, v2
	global_store_short v[4:5], v2, off
.LBB9_144:
	s_mov_b64 s[8:9], 0
.LBB9_145:
	s_andn2_b64 vcc, exec, s[8:9]
	s_cbranch_vccnz .LBB9_161
; %bb.146:
	s_cmp_lt_i32 s10, 2
	s_mov_b64 s[8:9], -1
	s_cbranch_scc1 .LBB9_156
; %bb.147:
	s_cmp_lt_i32 s10, 3
	s_cbranch_scc1 .LBB9_153
; %bb.148:
	s_cmp_gt_i32 s10, 3
	s_cbranch_scc0 .LBB9_150
; %bb.149:
	v_trunc_f64_e32 v[2:3], v[0:1]
	s_movk_i32 s8, 0xffe0
	v_ldexp_f64 v[6:7], v[2:3], s8
	s_mov_b32 s8, 0
	s_mov_b32 s9, 0xc1f00000
	v_floor_f64_e32 v[6:7], v[6:7]
	v_fma_f64 v[2:3], v[6:7], s[8:9], v[2:3]
	v_cvt_i32_f64_e32 v7, v[6:7]
	s_mov_b64 s[8:9], 0
	v_cvt_u32_f64_e32 v6, v[2:3]
	global_store_dwordx2 v[4:5], v[6:7], off
.LBB9_150:
	s_andn2_b64 vcc, exec, s[8:9]
	s_cbranch_vccnz .LBB9_152
; %bb.151:
	v_cvt_i32_f64_e32 v2, v[0:1]
	global_store_dword v[4:5], v2, off
.LBB9_152:
	s_mov_b64 s[8:9], 0
.LBB9_153:
	s_andn2_b64 vcc, exec, s[8:9]
	s_cbranch_vccnz .LBB9_155
; %bb.154:
	v_cvt_i32_f64_e32 v2, v[0:1]
	global_store_short v[4:5], v2, off
.LBB9_155:
	s_mov_b64 s[8:9], 0
.LBB9_156:
	s_andn2_b64 vcc, exec, s[8:9]
	s_cbranch_vccnz .LBB9_161
; %bb.157:
	s_cmp_gt_i32 s10, 0
	s_mov_b64 s[8:9], -1
	s_cbranch_scc0 .LBB9_159
; %bb.158:
	v_cvt_i32_f64_e32 v2, v[0:1]
	s_mov_b64 s[8:9], 0
	global_store_byte v[4:5], v2, off
.LBB9_159:
	s_andn2_b64 vcc, exec, s[8:9]
	s_cbranch_vccnz .LBB9_161
; %bb.160:
	v_trunc_f64_e32 v[0:1], v[0:1]
	s_movk_i32 s8, 0xffe0
	v_ldexp_f64 v[2:3], v[0:1], s8
	s_mov_b32 s8, 0
	s_mov_b32 s9, 0xc1f00000
	v_floor_f64_e32 v[2:3], v[2:3]
	v_fma_f64 v[0:1], v[2:3], s[8:9], v[0:1]
	v_cvt_u32_f64_e32 v0, v[0:1]
	global_store_byte v[4:5], v0, off
.LBB9_161:
.LBB9_162:
	v_add_u32_e32 v11, 0x80, v11
	s_mov_b64 s[8:9], -1
	s_branch .LBB9_273
.LBB9_163:
	s_mov_b64 s[2:3], -1
                                        ; implicit-def: $vgpr3_vgpr4
.LBB9_164:
	s_mov_b64 s[8:9], 0
.LBB9_165:
	s_and_b64 vcc, exec, s[8:9]
	s_cbranch_vccz .LBB9_169
; %bb.166:
	s_cmp_eq_u32 s12, 29
	s_cbranch_scc0 .LBB9_168
; %bb.167:
	global_load_dwordx2 v[3:4], v[0:1], off
	s_mov_b64 s[0:1], -1
	s_mov_b64 s[2:3], 0
	s_mov_b64 s[8:9], 0
	s_waitcnt vmcnt(0)
	v_cvt_f64_u32_e32 v[4:5], v4
	v_cvt_f64_u32_e32 v[6:7], v3
	v_ldexp_f64 v[4:5], v[4:5], 32
	v_add_f64 v[3:4], v[4:5], v[6:7]
	s_branch .LBB9_170
.LBB9_168:
	s_mov_b64 s[2:3], -1
                                        ; implicit-def: $vgpr3_vgpr4
.LBB9_169:
	s_mov_b64 s[8:9], 0
.LBB9_170:
	s_and_b64 vcc, exec, s[8:9]
	s_cbranch_vccz .LBB9_190
; %bb.171:
	s_cmp_lt_i32 s12, 27
	s_cbranch_scc1 .LBB9_174
; %bb.172:
	s_cmp_gt_i32 s12, 27
	s_cbranch_scc0 .LBB9_175
; %bb.173:
	global_load_dword v3, v[0:1], off
	s_mov_b64 s[0:1], 0
	s_waitcnt vmcnt(0)
	v_cvt_f64_u32_e32 v[3:4], v3
	s_branch .LBB9_176
.LBB9_174:
	s_mov_b64 s[0:1], -1
                                        ; implicit-def: $vgpr3_vgpr4
	s_branch .LBB9_179
.LBB9_175:
	s_mov_b64 s[0:1], -1
                                        ; implicit-def: $vgpr3_vgpr4
.LBB9_176:
	s_andn2_b64 vcc, exec, s[0:1]
	s_cbranch_vccnz .LBB9_178
; %bb.177:
	global_load_ushort v3, v[0:1], off
	s_waitcnt vmcnt(0)
	v_cvt_f64_u32_e32 v[3:4], v3
.LBB9_178:
	s_mov_b64 s[0:1], 0
.LBB9_179:
	s_andn2_b64 vcc, exec, s[0:1]
	s_cbranch_vccnz .LBB9_189
; %bb.180:
	global_load_ubyte v5, v[0:1], off
	s_movk_i32 s0, 0x7f
	s_waitcnt vmcnt(0)
	v_cmp_lt_i16_e32 vcc, s0, v5
	s_mov_b64 s[0:1], 0
	s_and_saveexec_b64 s[8:9], vcc
	s_xor_b64 s[8:9], exec, s[8:9]
	s_cbranch_execz .LBB9_184
; %bb.181:
	s_movk_i32 s0, 0x80
	v_cmp_eq_u16_e32 vcc, s0, v5
	s_mov_b64 s[0:1], -1
	s_and_saveexec_b64 s[10:11], vcc
; %bb.182:
	s_xor_b64 s[0:1], exec, -1
; %bb.183:
	s_or_b64 exec, exec, s[10:11]
	s_and_b64 s[0:1], s[0:1], exec
.LBB9_184:
	s_or_saveexec_b64 s[8:9], s[8:9]
	v_bfrev_b32_e32 v3, 4
	v_mov_b32_e32 v4, 0x7ff80000
	s_xor_b64 exec, exec, s[8:9]
; %bb.185:
	v_cmp_ne_u16_e32 vcc, 0, v5
	v_mov_b32_e32 v3, 0
	s_andn2_b64 s[0:1], s[0:1], exec
	s_and_b64 s[10:11], vcc, exec
	v_mov_b32_e32 v4, 0
	s_or_b64 s[0:1], s[0:1], s[10:11]
; %bb.186:
	s_or_b64 exec, exec, s[8:9]
	s_and_saveexec_b64 s[8:9], s[0:1]
	s_cbranch_execz .LBB9_188
; %bb.187:
	v_and_b32_e32 v4, 0xffff, v5
	v_lshlrev_b32_e32 v3, 24, v5
	v_and_b32_e32 v5, 7, v4
	v_ffbh_u32_e32 v7, v5
	v_min_u32_e32 v7, 32, v7
	v_subrev_u32_e32 v8, 28, v7
	v_bfe_u32 v6, v4, 3, 4
	v_lshlrev_b32_e32 v4, v8, v4
	v_sub_u32_e32 v7, 29, v7
	v_and_b32_e32 v4, 7, v4
	v_cmp_eq_u32_e32 vcc, 0, v6
	v_cndmask_b32_e32 v6, v6, v7, vcc
	v_cndmask_b32_e32 v4, v5, v4, vcc
	v_mov_b32_e32 v5, 0x3b800000
	v_lshlrev_b32_e32 v4, 20, v4
	v_and_b32_e32 v3, 0x80000000, v3
	v_lshl_add_u32 v5, v6, 23, v5
	v_or3_b32 v3, v3, v5, v4
	v_cvt_f64_f32_e32 v[3:4], v3
.LBB9_188:
	s_or_b64 exec, exec, s[8:9]
.LBB9_189:
	s_mov_b64 s[0:1], -1
.LBB9_190:
	s_branch .LBB9_223
.LBB9_191:
	s_cmp_gt_i32 s12, 22
	s_cbranch_scc0 .LBB9_203
; %bb.192:
	s_cmp_lt_i32 s12, 24
	s_cbranch_scc1 .LBB9_204
; %bb.193:
	s_cmp_gt_i32 s12, 24
	s_cbranch_scc0 .LBB9_205
; %bb.194:
	global_load_ubyte v5, v[0:1], off
	s_movk_i32 s0, 0x7f
	s_waitcnt vmcnt(0)
	v_cmp_lt_i16_e32 vcc, s0, v5
	s_mov_b64 s[0:1], 0
	s_and_saveexec_b64 s[8:9], vcc
	s_xor_b64 s[8:9], exec, s[8:9]
	s_cbranch_execz .LBB9_198
; %bb.195:
	s_movk_i32 s0, 0x80
	v_cmp_eq_u16_e32 vcc, s0, v5
	s_mov_b64 s[0:1], -1
	s_and_saveexec_b64 s[10:11], vcc
; %bb.196:
	s_xor_b64 s[0:1], exec, -1
; %bb.197:
	s_or_b64 exec, exec, s[10:11]
	s_and_b64 s[0:1], s[0:1], exec
.LBB9_198:
	s_or_saveexec_b64 s[8:9], s[8:9]
	v_bfrev_b32_e32 v3, 4
	v_mov_b32_e32 v4, 0x7ff80000
	s_xor_b64 exec, exec, s[8:9]
; %bb.199:
	v_cmp_ne_u16_e32 vcc, 0, v5
	v_mov_b32_e32 v3, 0
	s_andn2_b64 s[0:1], s[0:1], exec
	s_and_b64 s[10:11], vcc, exec
	v_mov_b32_e32 v4, 0
	s_or_b64 s[0:1], s[0:1], s[10:11]
; %bb.200:
	s_or_b64 exec, exec, s[8:9]
	s_and_saveexec_b64 s[8:9], s[0:1]
	s_cbranch_execz .LBB9_202
; %bb.201:
	v_and_b32_e32 v4, 0xffff, v5
	v_lshlrev_b32_e32 v3, 24, v5
	v_and_b32_e32 v5, 3, v4
	v_ffbh_u32_e32 v7, v5
	v_min_u32_e32 v7, 32, v7
	v_subrev_u32_e32 v8, 29, v7
	v_bfe_u32 v6, v4, 2, 5
	v_lshlrev_b32_e32 v4, v8, v4
	v_sub_u32_e32 v7, 30, v7
	v_and_b32_e32 v4, 3, v4
	v_cmp_eq_u32_e32 vcc, 0, v6
	v_cndmask_b32_e32 v6, v6, v7, vcc
	v_cndmask_b32_e32 v4, v5, v4, vcc
	v_mov_b32_e32 v5, 0x37800000
	v_lshlrev_b32_e32 v4, 21, v4
	v_and_b32_e32 v3, 0x80000000, v3
	v_lshl_add_u32 v5, v6, 23, v5
	v_or3_b32 v3, v3, v5, v4
	v_cvt_f64_f32_e32 v[3:4], v3
.LBB9_202:
	s_or_b64 exec, exec, s[8:9]
	s_mov_b64 s[0:1], 0
	s_branch .LBB9_206
.LBB9_203:
	s_mov_b64 s[8:9], -1
                                        ; implicit-def: $vgpr3_vgpr4
	s_branch .LBB9_212
.LBB9_204:
	s_mov_b64 s[0:1], -1
                                        ; implicit-def: $vgpr3_vgpr4
	s_branch .LBB9_209
.LBB9_205:
	s_mov_b64 s[0:1], -1
                                        ; implicit-def: $vgpr3_vgpr4
.LBB9_206:
	s_and_b64 vcc, exec, s[0:1]
	s_cbranch_vccz .LBB9_208
; %bb.207:
	global_load_ubyte v3, v[0:1], off
	s_mov_b32 s0, 0x7f800000
	s_waitcnt vmcnt(0)
	v_lshlrev_b32_e32 v3, 24, v3
	v_and_b32_e32 v4, 0x7f000000, v3
	v_ffbh_u32_e32 v5, v4
	v_min_u32_e32 v5, 32, v5
	v_sub_u32_e64 v5, v5, 4 clamp
	v_lshlrev_b32_e32 v7, v5, v4
	v_lshlrev_b32_e32 v5, 23, v5
	v_lshrrev_b32_e32 v7, 4, v7
	v_add_u32_e32 v6, 0x1000000, v4
	v_sub_u32_e32 v5, v7, v5
	v_ashrrev_i32_e32 v6, 8, v6
	v_add_u32_e32 v5, 0x3c000000, v5
	v_and_or_b32 v5, v6, s0, v5
	v_cmp_ne_u32_e32 vcc, 0, v4
	v_cndmask_b32_e32 v4, 0, v5, vcc
	s_brev_b32 s0, 1
	v_and_or_b32 v3, v3, s0, v4
	v_cvt_f64_f32_e32 v[3:4], v3
.LBB9_208:
	s_mov_b64 s[0:1], 0
.LBB9_209:
	s_andn2_b64 vcc, exec, s[0:1]
	s_cbranch_vccnz .LBB9_211
; %bb.210:
	global_load_ubyte v3, v[0:1], off
	s_movk_i32 s0, 0x7f00
	s_brev_b32 s1, 16
	s_waitcnt vmcnt(0)
	v_lshlrev_b16_e32 v4, 8, v3
	v_lshlrev_b32_e32 v3, 25, v3
	v_lshrrev_b32_e32 v5, 4, v3
	v_and_or_b32 v6, v4, s0, 0.5
	v_or_b32_e32 v5, 0x70000000, v5
	v_add_f32_e32 v6, -0.5, v6
	v_mul_f32_e32 v5, 0x7800000, v5
	v_cmp_gt_u32_e32 vcc, s1, v3
	v_bfe_i32 v4, v4, 0, 16
	v_cndmask_b32_e32 v3, v5, v6, vcc
	s_brev_b32 s0, 1
	v_and_or_b32 v3, v4, s0, v3
	v_cvt_f64_f32_e32 v[3:4], v3
.LBB9_211:
	s_mov_b64 s[8:9], 0
	s_mov_b64 s[0:1], -1
.LBB9_212:
	s_andn2_b64 vcc, exec, s[8:9]
	s_cbranch_vccnz .LBB9_223
; %bb.213:
	s_cmp_gt_i32 s12, 14
	s_cbranch_scc0 .LBB9_216
; %bb.214:
	s_cmp_eq_u32 s12, 15
	s_cbranch_scc0 .LBB9_217
; %bb.215:
	global_load_ushort v3, v[0:1], off
	s_mov_b64 s[0:1], -1
	s_mov_b64 s[2:3], 0
	s_waitcnt vmcnt(0)
	v_lshlrev_b32_e32 v3, 16, v3
	v_cvt_f64_f32_e32 v[3:4], v3
	s_branch .LBB9_218
.LBB9_216:
	s_mov_b64 s[8:9], -1
                                        ; implicit-def: $vgpr3_vgpr4
	s_branch .LBB9_219
.LBB9_217:
	s_mov_b64 s[2:3], -1
                                        ; implicit-def: $vgpr3_vgpr4
.LBB9_218:
	s_mov_b64 s[8:9], 0
.LBB9_219:
	s_and_b64 vcc, exec, s[8:9]
	s_cbranch_vccz .LBB9_223
; %bb.220:
	s_cmp_eq_u32 s12, 11
	s_cbranch_scc0 .LBB9_222
; %bb.221:
	global_load_ubyte v4, v[0:1], off
	v_mov_b32_e32 v5, 0x3ff00000
	v_mov_b32_e32 v3, 0
	s_mov_b64 s[0:1], -1
	s_mov_b64 s[2:3], 0
	s_waitcnt vmcnt(0)
	v_cmp_ne_u16_e32 vcc, 0, v4
	v_cndmask_b32_e32 v4, 0, v5, vcc
	s_branch .LBB9_223
.LBB9_222:
	s_mov_b64 s[2:3], -1
                                        ; implicit-def: $vgpr3_vgpr4
.LBB9_223:
	s_branch .LBB9_24
.LBB9_224:
	s_cmp_lt_i32 s12, 5
	s_cbranch_scc1 .LBB9_229
; %bb.225:
	s_cmp_lt_i32 s12, 8
	s_cbranch_scc1 .LBB9_230
; %bb.226:
	;; [unrolled: 3-line block ×3, first 2 shown]
	s_cmp_gt_i32 s12, 9
	s_cbranch_scc0 .LBB9_232
; %bb.228:
	global_load_dwordx2 v[3:4], v[0:1], off
	s_mov_b64 s[0:1], 0
	s_branch .LBB9_233
.LBB9_229:
                                        ; implicit-def: $vgpr3_vgpr4
	s_branch .LBB9_251
.LBB9_230:
	s_mov_b64 s[0:1], -1
                                        ; implicit-def: $vgpr3_vgpr4
	s_branch .LBB9_239
.LBB9_231:
	s_mov_b64 s[0:1], -1
                                        ; implicit-def: $vgpr3_vgpr4
	s_branch .LBB9_236
.LBB9_232:
	s_mov_b64 s[0:1], -1
                                        ; implicit-def: $vgpr3_vgpr4
.LBB9_233:
	s_andn2_b64 vcc, exec, s[0:1]
	s_cbranch_vccnz .LBB9_235
; %bb.234:
	global_load_dword v3, v[0:1], off
	s_waitcnt vmcnt(0)
	v_cvt_f64_f32_e32 v[3:4], v3
.LBB9_235:
	s_mov_b64 s[0:1], 0
.LBB9_236:
	s_andn2_b64 vcc, exec, s[0:1]
	s_cbranch_vccnz .LBB9_238
; %bb.237:
	global_load_dword v3, v[0:1], off
	s_waitcnt vmcnt(0)
	v_cvt_f32_f16_e32 v3, v3
	v_cvt_f64_f32_e32 v[3:4], v3
.LBB9_238:
	s_mov_b64 s[0:1], 0
.LBB9_239:
	s_andn2_b64 vcc, exec, s[0:1]
	s_cbranch_vccnz .LBB9_250
; %bb.240:
	s_cmp_lt_i32 s12, 6
	s_cbranch_scc1 .LBB9_243
; %bb.241:
	s_cmp_gt_i32 s12, 6
	s_cbranch_scc0 .LBB9_244
; %bb.242:
	global_load_dwordx2 v[3:4], v[0:1], off
	s_mov_b64 s[0:1], 0
	s_branch .LBB9_245
.LBB9_243:
	s_mov_b64 s[0:1], -1
                                        ; implicit-def: $vgpr3_vgpr4
	s_branch .LBB9_248
.LBB9_244:
	s_mov_b64 s[0:1], -1
                                        ; implicit-def: $vgpr3_vgpr4
.LBB9_245:
	s_andn2_b64 vcc, exec, s[0:1]
	s_cbranch_vccnz .LBB9_247
; %bb.246:
	global_load_dword v3, v[0:1], off
	s_waitcnt vmcnt(0)
	v_cvt_f64_f32_e32 v[3:4], v3
.LBB9_247:
	s_mov_b64 s[0:1], 0
.LBB9_248:
	s_andn2_b64 vcc, exec, s[0:1]
	s_cbranch_vccnz .LBB9_250
; %bb.249:
	global_load_ushort v3, v[0:1], off
	s_waitcnt vmcnt(0)
	v_cvt_f32_f16_e32 v3, v3
	v_cvt_f64_f32_e32 v[3:4], v3
.LBB9_250:
	s_cbranch_execnz .LBB9_270
.LBB9_251:
	s_cmp_lt_i32 s12, 2
	s_cbranch_scc1 .LBB9_255
; %bb.252:
	s_cmp_lt_i32 s12, 3
	s_cbranch_scc1 .LBB9_256
; %bb.253:
	s_cmp_gt_i32 s12, 3
	s_cbranch_scc0 .LBB9_257
; %bb.254:
	global_load_dwordx2 v[3:4], v[0:1], off
	s_mov_b64 s[0:1], 0
	s_waitcnt vmcnt(0)
	v_cvt_f64_i32_e32 v[4:5], v4
	v_cvt_f64_u32_e32 v[6:7], v3
	v_ldexp_f64 v[4:5], v[4:5], 32
	v_add_f64 v[3:4], v[4:5], v[6:7]
	s_branch .LBB9_258
.LBB9_255:
	s_mov_b64 s[0:1], -1
                                        ; implicit-def: $vgpr3_vgpr4
	s_branch .LBB9_264
.LBB9_256:
	s_mov_b64 s[0:1], -1
                                        ; implicit-def: $vgpr3_vgpr4
	s_branch .LBB9_261
.LBB9_257:
	s_mov_b64 s[0:1], -1
                                        ; implicit-def: $vgpr3_vgpr4
.LBB9_258:
	s_andn2_b64 vcc, exec, s[0:1]
	s_cbranch_vccnz .LBB9_260
; %bb.259:
	global_load_dword v3, v[0:1], off
	s_waitcnt vmcnt(0)
	v_cvt_f64_i32_e32 v[3:4], v3
.LBB9_260:
	s_mov_b64 s[0:1], 0
.LBB9_261:
	s_andn2_b64 vcc, exec, s[0:1]
	s_cbranch_vccnz .LBB9_263
; %bb.262:
	global_load_sshort v3, v[0:1], off
	s_waitcnt vmcnt(0)
	v_cvt_f64_i32_e32 v[3:4], v3
.LBB9_263:
	s_mov_b64 s[0:1], 0
.LBB9_264:
	s_andn2_b64 vcc, exec, s[0:1]
	s_cbranch_vccnz .LBB9_270
; %bb.265:
	s_cmp_gt_i32 s12, 0
	s_cbranch_scc0 .LBB9_267
; %bb.266:
	global_load_sbyte v3, v[0:1], off
	s_mov_b64 s[0:1], 0
	s_waitcnt vmcnt(0)
	v_cvt_f64_i32_e32 v[3:4], v3
	s_branch .LBB9_268
.LBB9_267:
	s_mov_b64 s[0:1], -1
                                        ; implicit-def: $vgpr3_vgpr4
.LBB9_268:
	s_andn2_b64 vcc, exec, s[0:1]
	s_cbranch_vccnz .LBB9_270
; %bb.269:
	global_load_ubyte v0, v[0:1], off
	s_waitcnt vmcnt(0)
	v_cvt_f64_u32_e32 v[3:4], v0
.LBB9_270:
	s_branch .LBB9_25
.LBB9_271:
	s_mov_b64 s[0:1], 0
.LBB9_272:
	s_mov_b64 s[8:9], 0
                                        ; implicit-def: $vgpr11
.LBB9_273:
	s_and_b64 s[52:53], s[0:1], exec
	s_and_b64 s[54:55], s[2:3], exec
	s_orn2_b64 s[2:3], s[8:9], exec
.LBB9_274:
	s_or_b64 exec, exec, s[56:57]
	s_mov_b64 s[8:9], 0
	s_mov_b64 s[0:1], 0
                                        ; implicit-def: $vgpr0_vgpr1
                                        ; implicit-def: $vgpr2
                                        ; implicit-def: $vgpr3_vgpr4
	s_and_saveexec_b64 s[56:57], s[2:3]
	s_cbranch_execz .LBB9_281
; %bb.275:
	v_cmp_gt_i32_e32 vcc, s75, v11
	s_mov_b64 s[0:1], -1
	s_mov_b64 s[58:59], s[54:55]
	s_mov_b64 s[60:61], s[52:53]
	s_and_saveexec_b64 s[62:63], vcc
	s_cbranch_execz .LBB9_558
; %bb.276:
	s_andn2_b64 vcc, exec, s[42:43]
	s_cbranch_vccnz .LBB9_284
; %bb.277:
	s_andn2_b64 vcc, exec, s[50:51]
	s_cbranch_vccnz .LBB9_285
; %bb.278:
	s_add_i32 s65, s76, 1
	s_cmp_eq_u32 s72, 2
	s_cbranch_scc1 .LBB9_286
; %bb.279:
	s_and_b32 s64, s65, 28
	v_mov_b32_e32 v0, 0
	s_mov_b32 s66, 0
	s_mov_b64 s[58:59], s[34:35]
	s_mov_b64 s[60:61], s[48:49]
	v_mov_b32_e32 v2, 0
	v_mov_b32_e32 v1, v11
.LBB9_280:                              ; =>This Inner Loop Header: Depth=1
	s_load_dwordx8 s[16:23], s[58:59], 0x4
	s_load_dwordx4 s[0:3], s[58:59], 0x24
	s_load_dwordx8 s[8:15], s[60:61], 0x0
	s_add_u32 s58, s58, 48
	s_addc_u32 s59, s59, 0
	s_waitcnt vmcnt(0) lgkmcnt(0)
	v_mul_hi_u32 v3, s17, v1
	s_add_i32 s66, s66, 4
	s_add_u32 s60, s60, 32
	s_addc_u32 s61, s61, 0
	v_add_u32_e32 v3, v1, v3
	v_lshrrev_b32_e32 v3, s18, v3
	v_mul_lo_u32 v4, v3, s16
	v_mul_hi_u32 v5, s20, v3
	s_cmp_eq_u32 s64, s66
	v_sub_u32_e32 v1, v1, v4
	v_add_u32_e32 v4, v3, v5
	v_mul_lo_u32 v5, v1, s8
	v_mul_lo_u32 v6, v1, s9
	v_lshrrev_b32_e32 v1, s21, v4
	v_mul_lo_u32 v4, v1, s19
	v_mul_hi_u32 v7, s23, v1
	v_sub_u32_e32 v3, v3, v4
	v_add_u32_e32 v4, v1, v7
	v_lshrrev_b32_e32 v4, s0, v4
	v_mul_hi_u32 v8, s2, v4
	v_mul_lo_u32 v9, v4, s22
	v_mul_lo_u32 v7, v3, s10
	;; [unrolled: 1-line block ×3, first 2 shown]
	v_sub_u32_e32 v9, v1, v9
	v_add_u32_e32 v1, v4, v8
	v_lshrrev_b32_e32 v1, s3, v1
	v_mul_lo_u32 v8, v1, s1
	v_mul_lo_u32 v10, v9, s12
	;; [unrolled: 1-line block ×3, first 2 shown]
	v_add3_u32 v2, v5, v2, v7
	v_sub_u32_e32 v4, v4, v8
	v_mul_lo_u32 v8, v4, s14
	v_mul_lo_u32 v4, v4, s15
	v_add3_u32 v0, v6, v0, v3
	v_add3_u32 v2, v10, v2, v8
	;; [unrolled: 1-line block ×3, first 2 shown]
	s_cbranch_scc0 .LBB9_280
	s_branch .LBB9_287
.LBB9_281:
	s_or_b64 exec, exec, s[56:57]
	s_mov_b64 s[2:3], 0
	s_waitcnt lgkmcnt(0)
	s_and_saveexec_b64 s[6:7], s[54:55]
	s_cbranch_execnz .LBB9_942
.LBB9_282:
	s_or_b64 exec, exec, s[6:7]
	s_and_saveexec_b64 s[6:7], s[60:61]
	s_xor_b64 s[6:7], exec, s[6:7]
	s_cbranch_execz .LBB9_943
.LBB9_283:
	global_load_ubyte v4, v[0:1], off
	v_mov_b32_e32 v5, 0x3ff00000
	s_waitcnt vmcnt(1)
	v_mov_b32_e32 v3, 0
	s_or_b64 s[0:1], s[0:1], exec
	s_waitcnt vmcnt(0)
	v_cmp_ne_u16_e32 vcc, 0, v4
	v_cndmask_b32_e32 v4, 0, v5, vcc
	s_or_b64 exec, exec, s[6:7]
	s_and_saveexec_b64 s[6:7], s[8:9]
	s_cbranch_execz .LBB9_989
	s_branch .LBB9_944
.LBB9_284:
                                        ; implicit-def: $vgpr2
                                        ; implicit-def: $vgpr0
	s_andn2_b64 vcc, exec, s[0:1]
	s_cbranch_vccz .LBB9_291
	s_branch .LBB9_293
.LBB9_285:
	v_mov_b32_e32 v2, 0
	v_mov_b32_e32 v0, 0
	s_branch .LBB9_290
.LBB9_286:
	s_mov_b32 s64, 0
	v_mov_b32_e32 v2, 0
	v_mov_b32_e32 v0, 0
	;; [unrolled: 1-line block ×3, first 2 shown]
.LBB9_287:
	s_and_b32 s8, s65, 3
	s_cmp_eq_u32 s8, 0
	s_cbranch_scc1 .LBB9_290
; %bb.288:
	s_lshl_b32 s0, s64, 3
	s_add_u32 s0, s34, s0
	s_addc_u32 s1, s35, 0
	s_add_u32 s0, s0, 0xc4
	s_addc_u32 s1, s1, 0
	s_mul_i32 s2, s64, 12
	s_add_u32 s2, s34, s2
	s_addc_u32 s3, s35, 0
.LBB9_289:                              ; =>This Inner Loop Header: Depth=1
	s_load_dwordx2 s[10:11], s[2:3], 0x4
	s_load_dword s9, s[2:3], 0xc
	s_load_dwordx2 s[12:13], s[0:1], 0x0
	s_add_u32 s2, s2, 12
	s_addc_u32 s3, s3, 0
	s_waitcnt vmcnt(0) lgkmcnt(0)
	v_mul_hi_u32 v3, s11, v1
	s_add_u32 s0, s0, 8
	s_addc_u32 s1, s1, 0
	s_add_i32 s8, s8, -1
	v_add_u32_e32 v3, v1, v3
	v_lshrrev_b32_e32 v4, s9, v3
	v_mul_lo_u32 v3, v4, s10
	s_cmp_lg_u32 s8, 0
	v_sub_u32_e32 v1, v1, v3
	v_mad_u64_u32 v[2:3], s[10:11], v1, s12, v[2:3]
	v_mad_u64_u32 v[0:1], s[10:11], v1, s13, v[0:1]
	v_mov_b32_e32 v1, v4
	s_cbranch_scc1 .LBB9_289
.LBB9_290:
	s_cbranch_execnz .LBB9_293
.LBB9_291:
	s_waitcnt lgkmcnt(0)
	v_mul_hi_u32 v0, s37, v11
	s_andn2_b64 vcc, exec, s[46:47]
	v_add_u32_e32 v0, v11, v0
	v_lshrrev_b32_e32 v1, s38, v0
	v_mul_lo_u32 v0, v1, s36
	v_sub_u32_e32 v0, v11, v0
	v_mul_lo_u32 v2, v0, s28
	v_mul_lo_u32 v0, v0, s29
	s_cbranch_vccnz .LBB9_293
; %bb.292:
	s_waitcnt vmcnt(0)
	v_mul_hi_u32 v3, s6, v1
	v_add_u32_e32 v3, v1, v3
	v_lshrrev_b32_e32 v3, s7, v3
	v_mul_lo_u32 v3, v3, s39
	v_sub_u32_e32 v1, v1, v3
	v_mad_u64_u32 v[2:3], s[0:1], v1, s30, v[2:3]
	v_mad_u64_u32 v[0:1], s[0:1], v1, s31, v[0:1]
.LBB9_293:
	s_waitcnt lgkmcnt(0)
	v_mov_b32_e32 v1, s27
	s_and_b32 s12, 0xffff, s74
	v_add_co_u32_e32 v0, vcc, s26, v0
	s_cmp_lt_i32 s12, 11
	v_addc_co_u32_e32 v1, vcc, 0, v1, vcc
	s_cbranch_scc1 .LBB9_300
; %bb.294:
	s_cmp_gt_i32 s12, 25
	s_cbranch_scc0 .LBB9_317
; %bb.295:
	s_cmp_gt_i32 s12, 28
	s_cbranch_scc0 .LBB9_319
	;; [unrolled: 3-line block ×4, first 2 shown]
; %bb.298:
	s_cmp_eq_u32 s12, 46
	s_mov_b64 s[8:9], 0
	s_cbranch_scc0 .LBB9_329
; %bb.299:
	global_load_dword v3, v[0:1], off
	s_mov_b64 s[0:1], -1
	s_mov_b64 s[2:3], 0
	s_waitcnt vmcnt(0)
	v_lshlrev_b32_e32 v3, 16, v3
	v_cvt_f64_f32_e32 v[3:4], v3
	s_branch .LBB9_330
.LBB9_300:
	s_mov_b64 s[0:1], 0
                                        ; implicit-def: $vgpr3_vgpr4
	s_mov_b64 s[2:3], s[54:55]
	s_cbranch_execnz .LBB9_507
.LBB9_301:
	s_andn2_b64 vcc, exec, s[0:1]
	s_cbranch_vccnz .LBB9_555
.LBB9_302:
	s_waitcnt vmcnt(0)
	v_cmp_neq_f64_e32 vcc, 0, v[3:4]
	v_mov_b32_e32 v0, 0
	v_mov_b32_e32 v1, 0x7ff00000
	s_and_saveexec_b64 s[8:9], vcc
	s_cbranch_execz .LBB9_310
; %bb.303:
	v_cmp_ngt_f64_e32 vcc, 0, v[3:4]
	v_mov_b32_e32 v0, 0
	v_mov_b32_e32 v1, 0x7ff80000
	s_and_saveexec_b64 s[10:11], vcc
	s_cbranch_execz .LBB9_309
; %bb.304:
	v_cmp_ge_f64_e32 vcc, 2.0, v[3:4]
                                        ; implicit-def: $vgpr0_vgpr1
	s_and_saveexec_b64 s[0:1], vcc
	s_xor_b64 s[12:13], exec, s[0:1]
	s_cbranch_execz .LBB9_306
; %bb.305:
	v_fma_f64 v[0:1], v[3:4], 0.5, -2.0
	v_mov_b32_e32 v5, 0x977da589
	v_mov_b32_e32 v6, 0x3c833362
	s_mov_b32 s1, 0xbc545cb7
	s_mov_b32 s0, 0x2134d0ef
	;; [unrolled: 1-line block ×5, first 2 shown]
	v_fma_f64 v[5:6], v[0:1], s[0:1], v[5:6]
	s_mov_b32 s1, 0x3c545cb7
	s_mov_b32 s67, 0x3fd99999
	;; [unrolled: 1-line block ×7, first 2 shown]
	v_fma_f64 v[7:8], v[0:1], v[5:6], s[0:1]
	s_mov_b32 s0, 0x721ebbb4
	s_mov_b32 s1, 0xbcb184eb
	s_mov_b32 s65, 0x3da6c25c
	s_mov_b32 s58, 0x67e58a13
	s_mov_b32 s71, 0x3c7abc9e
	s_mov_b32 s70, 0x3b39803f
	s_mov_b32 s59, 0x3e205c13
	v_add_f64 v[7:8], v[7:8], s[0:1]
	s_mov_b32 s0, 0x93f65eba
	s_mov_b32 s1, 0x3cdee6d8
	;; [unrolled: 1-line block ×7, first 2 shown]
	v_fma_f64 v[5:6], v[0:1], v[7:8], -v[5:6]
	s_mov_b32 s19, 0x3f54b82e
	s_mov_b32 s16, 0x554a9085
	;; [unrolled: 1-line block ×3, first 2 shown]
	v_add_f64 v[5:6], v[5:6], s[0:1]
	s_mov_b32 s0, 0xc297fbeb
	s_mov_b32 s1, 0xbd0a5022
	v_fma_f64 v[7:8], v[0:1], v[5:6], -v[7:8]
	v_add_f64 v[7:8], v[7:8], s[0:1]
	s_mov_b32 s0, 0x4b262627
	s_mov_b32 s1, 0x3d359b46
	v_fma_f64 v[5:6], v[0:1], v[7:8], -v[5:6]
	;; [unrolled: 4-line block ×4, first 2 shown]
	v_add_f64 v[9:10], v[5:6], s[0:1]
	v_mul_f64 v[5:6], v[3:4], 0.5
	s_mov_b32 s1, 0x3fe55555
	s_mov_b32 s0, 0x55555555
	v_fma_f64 v[7:8], v[0:1], v[9:10], -v[7:8]
	v_frexp_mant_f64_e32 v[12:13], v[5:6]
	v_frexp_exp_i32_f64_e32 v32, v[5:6]
	v_add_f64 v[7:8], v[7:8], s[14:15]
	v_cmp_gt_f64_e32 vcc, s[0:1], v[12:13]
	s_mov_b32 s14, 0xcc743c10
	s_mov_b32 s15, 0x3dda98be
	;; [unrolled: 1-line block ×3, first 2 shown]
	v_fma_f64 v[9:10], v[0:1], v[7:8], -v[9:10]
	v_cndmask_b32_e64 v14, 0, 1, vcc
	v_ldexp_f64 v[12:13], v[12:13], v14
	v_subbrev_co_u32_e32 v32, vcc, 0, v32, vcc
	v_cvt_f64_i32_e32 v[32:33], v32
	v_add_f64 v[9:10], v[9:10], s[14:15]
	s_mov_b32 s14, 0x13ae9556
	v_add_f64 v[14:15], v[12:13], 1.0
	s_mov_b32 s15, 0xbe01d4fe
	v_add_f64 v[20:21], v[12:13], -1.0
	v_mul_f64 v[34:35], v[32:33], s[68:69]
	v_fma_f64 v[7:8], v[0:1], v[9:10], -v[7:8]
	v_rcp_f64_e32 v[16:17], v[14:15]
	v_add_f64 v[22:23], v[14:15], -1.0
	v_add_f64 v[7:8], v[7:8], s[14:15]
	s_mov_b32 s14, 0xa454cb34
	s_mov_b32 s15, 0x3e26d903
	v_add_f64 v[12:13], v[12:13], -v[22:23]
	v_fma_f64 v[9:10], v[0:1], v[7:8], -v[9:10]
	v_fma_f64 v[18:19], -v[14:15], v[16:17], 1.0
	v_fma_f64 v[16:17], v[18:19], v[16:17], v[16:17]
	v_add_f64 v[18:19], v[9:10], s[14:15]
	s_mov_b32 s14, 0x8c0b30ab
	s_mov_b32 s15, 0xbe4beaf6
	v_fma_f64 v[9:10], -v[14:15], v[16:17], 1.0
	v_fma_f64 v[7:8], v[0:1], v[18:19], -v[7:8]
	v_fma_f64 v[16:17], v[9:10], v[16:17], v[16:17]
	v_add_f64 v[7:8], v[7:8], s[14:15]
	s_mov_b32 s14, 0x9d4d6435
	s_mov_b32 s15, 0x3e703b76
	v_mul_f64 v[9:10], v[20:21], v[16:17]
	v_fma_f64 v[18:19], v[0:1], v[7:8], -v[18:19]
	v_mul_f64 v[24:25], v[14:15], v[9:10]
	v_add_f64 v[18:19], v[18:19], s[14:15]
	s_mov_b32 s14, 0x8f227f8d
	s_mov_b32 s15, 0xbe91ec63
	v_fma_f64 v[14:15], v[9:10], v[14:15], -v[24:25]
	v_fma_f64 v[7:8], v[0:1], v[18:19], -v[7:8]
	v_fma_f64 v[12:13], v[9:10], v[12:13], v[14:15]
	v_add_f64 v[7:8], v[7:8], s[14:15]
	s_mov_b32 s14, 0x978cf4ac
	s_mov_b32 s15, 0x3eb2bf24
	v_add_f64 v[14:15], v[24:25], v[12:13]
	v_fma_f64 v[18:19], v[0:1], v[7:8], -v[18:19]
	v_add_f64 v[22:23], v[20:21], -v[14:15]
	v_add_f64 v[18:19], v[18:19], s[14:15]
	v_add_f64 v[24:25], v[14:15], -v[24:25]
	s_mov_b32 s14, 0xcba56427
	s_mov_b32 s15, 0xbed2866f
	v_add_f64 v[20:21], v[20:21], -v[22:23]
	v_fma_f64 v[7:8], v[0:1], v[18:19], -v[7:8]
	v_add_f64 v[12:13], v[24:25], -v[12:13]
	v_mov_b32_e32 v24, 0x6b47b09a
	v_mov_b32_e32 v25, 0x3fc38538
	v_add_f64 v[14:15], v[20:21], -v[14:15]
	v_add_f64 v[7:8], v[7:8], s[14:15]
	s_mov_b32 s14, 0xbe9a2859
	s_mov_b32 s15, 0x3ef13f58
	v_add_f64 v[12:13], v[12:13], v[14:15]
	v_fma_f64 v[14:15], v[0:1], v[7:8], -v[18:19]
	v_mov_b32_e32 v18, 0xc384c2aa
	v_mov_b32_e32 v19, 0x3d27fb0a
	v_add_f64 v[12:13], v[22:23], v[12:13]
	v_add_f64 v[14:15], v[14:15], s[14:15]
	s_mov_b32 s14, 0x59c41d5a
	s_mov_b32 s15, 0xbf0e2b26
	v_mul_f64 v[12:13], v[16:17], v[12:13]
	v_fma_f64 v[16:17], v[0:1], v[14:15], -v[7:8]
	v_fma_f64 v[7:8], v[3:4], v[3:4], -2.0
	v_add_f64 v[20:21], v[9:10], v[12:13]
	v_add_f64 v[16:17], v[16:17], s[14:15]
	s_mov_b32 s14, 0xbf559e2b
	s_mov_b32 s15, 0x3fc3ab76
	v_fma_f64 v[18:19], v[7:8], s[60:61], v[18:19]
	s_mov_b32 s61, 0xbca3cee1
	v_mul_f64 v[22:23], v[20:21], v[20:21]
	v_fma_f64 v[14:15], v[0:1], v[16:17], -v[14:15]
	v_ldexp_f64 v[28:29], v[20:21], 1
	v_add_f64 v[9:10], v[20:21], -v[9:10]
	v_fma_f64 v[30:31], v[7:8], v[18:19], s[60:61]
	s_mov_b32 s60, 0xf121b6f0
	s_mov_b32 s61, 0xbf984e9e
	v_fma_f64 v[24:25], v[22:23], s[14:15], v[24:25]
	s_mov_b32 s14, 0x74107cab
	s_mov_b32 s15, 0x3f28b51b
	v_add_f64 v[14:15], v[14:15], s[14:15]
	s_mov_b32 s14, 0xd7f4df2e
	s_mov_b32 s15, 0x3fc7474d
	v_mul_f64 v[26:27], v[20:21], v[22:23]
	v_add_f64 v[30:31], v[30:31], s[64:65]
	v_fma_f64 v[24:25], v[22:23], v[24:25], s[14:15]
	s_mov_b32 s14, 0x16291751
	s_mov_b32 s15, 0x3fcc71c0
	v_fma_f64 v[16:17], v[0:1], v[14:15], -v[16:17]
	v_add_f64 v[12:13], v[12:13], -v[9:10]
	v_fma_f64 v[18:19], v[7:8], v[30:31], -v[18:19]
	v_fma_f64 v[24:25], v[22:23], v[24:25], s[14:15]
	s_mov_b32 s14, 0x1f15eb52
	s_mov_b32 s15, 0xbf42e2fd
	v_add_f64 v[16:17], v[16:17], s[14:15]
	s_mov_b32 s14, 0x9b27acf1
	s_mov_b32 s15, 0x3fd24924
	v_ldexp_f64 v[12:13], v[12:13], 1
	v_add_f64 v[18:19], v[18:19], s[58:59]
	v_fma_f64 v[24:25], v[22:23], v[24:25], s[14:15]
	s_mov_b32 s58, 0x623fde64
	s_mov_b32 s59, 0x3ec71dee
	v_fma_f64 v[14:15], v[0:1], v[16:17], -v[14:15]
	s_mov_b32 s14, 0x81213db9
	s_mov_b32 s15, 0x3fd608d8
	v_fma_f64 v[30:31], v[7:8], v[18:19], -v[30:31]
	v_fma_f64 v[24:25], v[22:23], v[24:25], s[66:67]
	s_mov_b32 s66, 0x8a12100e
	s_mov_b32 s67, 0x3f5adc75
	v_add_f64 v[14:15], v[14:15], s[66:67]
	s_mov_b32 s66, 0x652b82fe
	s_mov_b32 s67, 0x3ff71547
	v_add_f64 v[30:31], v[30:31], s[22:23]
	v_fma_f64 v[22:23], v[22:23], v[24:25], s[0:1]
	s_mov_b32 s0, 0x201aa849
	s_mov_b32 s1, 0xbf71b65e
	v_fma_f64 v[16:17], v[0:1], v[14:15], -v[16:17]
	v_mov_b32_e32 v24, 0xfca7ab0c
	v_mov_b32_e32 v25, 0x3e928af3
	s_mov_b32 s22, 0x14761f6e
	v_fma_f64 v[18:19], v[7:8], v[30:31], -v[18:19]
	v_mul_f64 v[22:23], v[26:27], v[22:23]
	v_mul_f64 v[26:27], v[3:4], s[66:67]
	s_mov_b32 s23, 0x3f2a01a0
	v_add_f64 v[16:17], v[16:17], s[0:1]
	s_mov_b32 s0, 0xf3dde3dd
	s_mov_b32 s1, 0x3f859961
	v_add_f64 v[18:19], v[18:19], s[20:21]
	v_add_f64 v[20:21], v[28:29], v[22:23]
	v_rndne_f64_e32 v[9:10], v[26:27]
	v_fma_f64 v[26:27], v[32:33], s[68:69], -v[34:35]
	v_fma_f64 v[14:15], v[0:1], v[16:17], -v[14:15]
	s_mov_b32 s69, 0xbfe62e42
	s_mov_b32 s20, 0x77ac88c0
	;; [unrolled: 1-line block ×3, first 2 shown]
	v_add_f64 v[28:29], v[20:21], -v[28:29]
	v_fma_f64 v[3:4], v[9:10], s[68:69], v[3:4]
	v_fma_f64 v[26:27], v[32:33], s[70:71], v[26:27]
	v_add_f64 v[14:15], v[14:15], s[0:1]
	s_mov_b32 s71, 0xbc7abc9e
	s_mov_b32 s0, 0x6a5dcb37
	;; [unrolled: 1-line block ×3, first 2 shown]
	v_add_f64 v[22:23], v[22:23], -v[28:29]
	v_fma_f64 v[3:4], v[9:10], s[70:71], v[3:4]
	v_fma_f64 v[16:17], v[0:1], v[14:15], -v[16:17]
	v_add_f64 v[12:13], v[12:13], v[22:23]
	v_add_f64 v[22:23], v[34:35], v[26:27]
	v_fma_f64 v[24:25], v[3:4], s[0:1], v[24:25]
	v_add_f64 v[16:17], v[16:17], s[60:61]
	s_mov_b32 s60, 0xcea8a32d
	s_mov_b32 s61, 0x3fa93e8a
	;; [unrolled: 1-line block ×4, first 2 shown]
	v_add_f64 v[28:29], v[20:21], v[12:13]
	v_add_f64 v[34:35], v[22:23], -v[34:35]
	v_fma_f64 v[24:25], v[3:4], v[24:25], s[58:59]
	v_fma_f64 v[14:15], v[0:1], v[16:17], -v[14:15]
	s_mov_b32 s58, 0x1852b7b0
	s_mov_b32 s59, 0x3f56c16c
	v_add_f64 v[32:33], v[22:23], v[28:29]
	v_add_f64 v[20:21], v[28:29], -v[20:21]
	v_fma_f64 v[24:25], v[3:4], v[24:25], s[0:1]
	v_add_f64 v[14:15], v[14:15], s[60:61]
	s_mov_b32 s0, 0x342d06ea
	s_mov_b32 s1, 0xbfb84b70
	v_add_f64 v[26:27], v[26:27], -v[34:35]
	v_add_f64 v[36:37], v[32:33], -v[22:23]
	;; [unrolled: 1-line block ×3, first 2 shown]
	v_fma_f64 v[24:25], v[3:4], v[24:25], s[22:23]
	v_fma_f64 v[16:17], v[0:1], v[14:15], -v[16:17]
	v_add_f64 v[38:39], v[32:33], -v[36:37]
	v_add_f64 v[20:21], v[28:29], -v[36:37]
	v_fma_f64 v[28:29], v[7:8], v[18:19], -v[30:31]
	v_add_f64 v[16:17], v[16:17], s[0:1]
	v_fma_f64 v[24:25], v[3:4], v[24:25], s[58:59]
	s_mov_b32 s0, 0x11122322
	s_mov_b32 s1, 0x3f811111
	v_add_f64 v[30:31], v[26:27], v[12:13]
	v_add_f64 v[22:23], v[22:23], -v[38:39]
	v_fma_f64 v[14:15], v[0:1], v[16:17], -v[14:15]
	v_fma_f64 v[24:25], v[3:4], v[24:25], s[0:1]
	s_mov_b32 s0, 0x555502a1
	s_mov_b32 s1, 0x3fa55555
	v_add_f64 v[20:21], v[20:21], v[22:23]
	v_add_f64 v[22:23], v[28:29], s[18:19]
	s_mov_b32 s18, 0x55555511
	v_add_f64 v[14:15], v[14:15], s[20:21]
	v_fma_f64 v[24:25], v[3:4], v[24:25], s[0:1]
	v_add_f64 v[28:29], v[30:31], -v[26:27]
	s_mov_b32 s0, 0xc057cd8d
	s_mov_b32 s19, 0x3fc55555
	v_add_f64 v[20:21], v[30:31], v[20:21]
	v_fma_f64 v[18:19], v[7:8], v[22:23], -v[18:19]
	s_mov_b32 s1, 0xbfd37feb
	v_fma_f64 v[16:17], v[0:1], v[14:15], -v[16:17]
	v_fma_f64 v[24:25], v[3:4], v[24:25], s[18:19]
	v_add_f64 v[30:31], v[30:31], -v[28:29]
	v_add_f64 v[12:13], v[12:13], -v[28:29]
	v_add_f64 v[34:35], v[32:33], v[20:21]
	v_add_f64 v[18:19], v[18:19], s[16:17]
	;; [unrolled: 1-line block ×3, first 2 shown]
	s_mov_b32 s0, 11
	s_mov_b32 s1, 0x3fe00000
	v_fma_f64 v[24:25], v[3:4], v[24:25], s[0:1]
	v_add_f64 v[26:27], v[26:27], -v[30:31]
	v_add_f64 v[28:29], v[34:35], -v[32:33]
	v_fma_f64 v[22:23], v[7:8], v[18:19], -v[22:23]
	s_mov_b32 s0, 0x9035a22a
	v_fma_f64 v[0:1], v[0:1], v[16:17], -v[14:15]
	s_mov_b32 s1, 0x3fe5a84e
	v_add_f64 v[12:13], v[12:13], v[26:27]
	v_add_f64 v[16:17], v[20:21], -v[28:29]
	v_add_f64 v[20:21], v[22:23], s[14:15]
	v_fma_f64 v[22:23], v[3:4], v[24:25], 1.0
	v_add_f64 v[0:1], v[0:1], s[0:1]
	s_mov_b32 s0, 0xe9d2f61f
	s_mov_b32 s1, 0xbfe12166
	v_add_f64 v[12:13], v[12:13], v[16:17]
	v_fma_f64 v[7:8], v[7:8], v[20:21], -v[18:19]
	v_fma_f64 v[3:4], v[3:4], v[22:23], 1.0
	v_add_f64 v[0:1], v[0:1], -v[14:15]
	v_cvt_i32_f64_e32 v14, v[9:10]
	v_add_f64 v[9:10], v[34:35], v[12:13]
	v_add_f64 v[7:8], v[7:8], s[0:1]
	v_ldexp_f64 v[3:4], v[3:4], v14
	v_mul_f64 v[0:1], v[0:1], 0.5
	s_mov_b32 s0, 0
	s_mov_b32 s1, 0x7ff00000
	v_cmp_neq_f64_e32 vcc, s[0:1], v[5:6]
	v_cmp_neq_f64_e64 s[0:1], 0, v[5:6]
	v_mov_b32_e32 v12, 0x7ff00000
	v_add_f64 v[5:6], v[7:8], -v[18:19]
	v_mul_f64 v[0:1], v[3:4], v[0:1]
	v_cndmask_b32_e32 v10, v12, v10, vcc
	v_mov_b32_e32 v12, 0xfff00000
	s_and_b64 vcc, s[0:1], vcc
	v_cndmask_b32_e64 v8, v12, v10, s[0:1]
	v_cndmask_b32_e32 v7, 0, v9, vcc
	v_mul_f64 v[0:1], v[7:8], v[0:1]
	v_fma_f64 v[0:1], v[5:6], 0.5, -v[0:1]
	v_mul_f64 v[0:1], v[3:4], v[0:1]
                                        ; implicit-def: $vgpr3_vgpr4
.LBB9_306:
	s_andn2_saveexec_b64 s[0:1], s[12:13]
	s_cbranch_execz .LBB9_308
; %bb.307:
	s_mov_b32 s12, 0
	s_mov_b32 s13, 0x40200000
	v_div_scale_f64 v[0:1], s[14:15], v[3:4], v[3:4], s[12:13]
	v_rcp_f64_e32 v[5:6], v[0:1]
	v_fma_f64 v[7:8], -v[0:1], v[5:6], 1.0
	v_fma_f64 v[5:6], v[5:6], v[7:8], v[5:6]
	v_div_scale_f64 v[7:8], vcc, s[12:13], v[3:4], s[12:13]
	v_fma_f64 v[9:10], -v[0:1], v[5:6], 1.0
	v_fma_f64 v[5:6], v[5:6], v[9:10], v[5:6]
	v_mul_f64 v[9:10], v[7:8], v[5:6]
	v_fma_f64 v[0:1], -v[0:1], v[9:10], v[7:8]
	v_div_fmas_f64 v[0:1], v[0:1], v[5:6], v[9:10]
	v_mov_b32_e32 v5, 0x93812603
	v_mov_b32_e32 v6, 0xbc72fecc
	;; [unrolled: 1-line block ×3, first 2 shown]
	v_div_fixup_f64 v[0:1], v[0:1], v[3:4], s[12:13]
	s_mov_b32 s13, 0x3c5871a5
	s_mov_b32 s12, 0xcf8c9ee1
	v_add_f64 v[0:1], v[0:1], -2.0
	v_fma_f64 v[5:6], v[0:1], s[12:13], v[5:6]
	s_mov_b32 s13, 0xbc5871a5
	v_fma_f64 v[7:8], v[0:1], v[5:6], s[12:13]
	s_mov_b32 s12, 0x41a8cdf4
	s_mov_b32 s13, 0x3c8e092e
	v_add_f64 v[7:8], v[7:8], s[12:13]
	s_mov_b32 s12, 0x74d77641
	s_mov_b32 s13, 0xbca82f94
	v_fma_f64 v[5:6], v[0:1], v[7:8], -v[5:6]
	v_add_f64 v[5:6], v[5:6], s[12:13]
	s_mov_b32 s12, 0x6b94785b
	s_mov_b32 s13, 0x3cc3dbf9
	v_fma_f64 v[7:8], v[0:1], v[5:6], -v[7:8]
	;; [unrolled: 4-line block ×17, first 2 shown]
	v_add_f64 v[5:6], v[5:6], s[12:13]
	s_mov_b32 s12, 0
	s_brev_b32 s13, 8
	v_cmp_gt_f64_e32 vcc, s[12:13], v[3:4]
	s_mov_b32 s12, 0xcc7470a9
	s_mov_b32 s13, 0x3eed413f
	v_fma_f64 v[7:8], v[0:1], v[5:6], -v[7:8]
	v_cndmask_b32_e32 v9, 0, v9, vcc
	v_ldexp_f64 v[3:4], v[3:4], v9
	v_add_f64 v[7:8], v[7:8], s[12:13]
	s_mov_b32 s12, 0xe7889f42
	s_mov_b32 s13, 0xbf20d797
	v_rsq_f64_e32 v[9:10], v[3:4]
	v_fma_f64 v[5:6], v[0:1], v[7:8], -v[5:6]
	v_add_f64 v[5:6], v[5:6], s[12:13]
	s_mov_b32 s12, 0xfca79342
	s_mov_b32 s13, 0x3f59b891
	v_mul_f64 v[12:13], v[3:4], v[9:10]
	v_mul_f64 v[9:10], v[9:10], 0.5
	v_fma_f64 v[7:8], v[0:1], v[5:6], -v[7:8]
	v_fma_f64 v[14:15], -v[9:10], v[12:13], 0.5
	v_add_f64 v[7:8], v[7:8], s[12:13]
	s_mov_b32 s12, 0x2d4ff71e
	s_mov_b32 s13, 0xbfa019f7
	v_fma_f64 v[12:13], v[12:13], v[14:15], v[12:13]
	v_fma_f64 v[9:10], v[9:10], v[14:15], v[9:10]
	v_fma_f64 v[5:6], v[0:1], v[7:8], -v[5:6]
	v_fma_f64 v[14:15], -v[12:13], v[12:13], v[3:4]
	v_add_f64 v[5:6], v[5:6], s[12:13]
	s_mov_b32 s12, 0x9f4e6907
	s_mov_b32 s13, 0x400385bd
	v_fma_f64 v[12:13], v[14:15], v[9:10], v[12:13]
	v_fma_f64 v[0:1], v[0:1], v[5:6], -v[7:8]
	v_fma_f64 v[5:6], -v[12:13], v[12:13], v[3:4]
	v_add_f64 v[0:1], v[0:1], s[12:13]
	v_fma_f64 v[5:6], v[5:6], v[9:10], v[12:13]
	v_add_f64 v[0:1], v[0:1], -v[7:8]
	v_mov_b32_e32 v7, 0xffffff80
	v_mov_b32_e32 v8, 0x260
	v_cndmask_b32_e32 v7, 0, v7, vcc
	v_cmp_class_f64_e32 vcc, v[3:4], v8
	v_ldexp_f64 v[5:6], v[5:6], v7
	v_mul_f64 v[0:1], v[0:1], 0.5
	v_cndmask_b32_e32 v4, v6, v4, vcc
	v_cndmask_b32_e32 v3, v5, v3, vcc
	v_div_scale_f64 v[5:6], s[12:13], v[3:4], v[3:4], v[0:1]
	v_div_scale_f64 v[12:13], vcc, v[0:1], v[3:4], v[0:1]
	v_rcp_f64_e32 v[7:8], v[5:6]
	v_fma_f64 v[9:10], -v[5:6], v[7:8], 1.0
	v_fma_f64 v[7:8], v[7:8], v[9:10], v[7:8]
	v_fma_f64 v[9:10], -v[5:6], v[7:8], 1.0
	v_fma_f64 v[7:8], v[7:8], v[9:10], v[7:8]
	v_mul_f64 v[9:10], v[12:13], v[7:8]
	v_fma_f64 v[5:6], -v[5:6], v[9:10], v[12:13]
	v_div_fmas_f64 v[5:6], v[5:6], v[7:8], v[9:10]
	v_div_fixup_f64 v[0:1], v[5:6], v[3:4], v[0:1]
.LBB9_308:
	s_or_b64 exec, exec, s[0:1]
.LBB9_309:
	s_or_b64 exec, exec, s[10:11]
.LBB9_310:
	s_or_b64 exec, exec, s[8:9]
	v_mov_b32_e32 v3, s25
	s_and_b32 s14, s73, 0xff
	v_add_co_u32_e32 v4, vcc, s24, v2
	s_cmp_lt_i32 s14, 11
	v_addc_co_u32_e32 v5, vcc, 0, v3, vcc
	s_cbranch_scc1 .LBB9_318
; %bb.311:
	s_and_b32 s15, 0xffff, s14
	s_cmp_gt_i32 s15, 25
	s_cbranch_scc0 .LBB9_320
; %bb.312:
	s_cmp_gt_i32 s15, 28
	s_cbranch_scc0 .LBB9_322
; %bb.313:
	;; [unrolled: 3-line block ×4, first 2 shown]
	s_mov_b64 s[10:11], 0
	s_mov_b64 s[0:1], -1
	s_cmp_eq_u32 s15, 46
	s_mov_b64 s[8:9], 0
	s_cbranch_scc0 .LBB9_334
; %bb.316:
	v_cvt_f32_f64_e32 v2, v[0:1]
	s_movk_i32 s0, 0x7fff
	v_mov_b32_e32 v3, 0x7fc0
	s_mov_b64 s[8:9], -1
	v_bfe_u32 v6, v2, 16, 1
	v_cmp_o_f32_e32 vcc, v2, v2
	v_add3_u32 v2, v2, v6, s0
	v_cndmask_b32_sdwa v2, v3, v2, vcc dst_sel:DWORD dst_unused:UNUSED_PAD src0_sel:DWORD src1_sel:WORD_1
	global_store_dword v[4:5], v2, off
	s_mov_b64 s[0:1], 0
	s_branch .LBB9_334
.LBB9_317:
	s_mov_b64 s[8:9], -1
	s_mov_b64 s[0:1], 0
	s_mov_b64 s[2:3], s[54:55]
                                        ; implicit-def: $vgpr3_vgpr4
	s_branch .LBB9_473
.LBB9_318:
	s_mov_b64 s[10:11], -1
	s_mov_b64 s[8:9], 0
	s_mov_b64 s[0:1], s[52:53]
	s_branch .LBB9_403
.LBB9_319:
	s_mov_b64 s[8:9], -1
	s_mov_b64 s[0:1], 0
	s_mov_b64 s[2:3], s[54:55]
                                        ; implicit-def: $vgpr3_vgpr4
	s_branch .LBB9_452
.LBB9_320:
	s_mov_b64 s[10:11], -1
	s_mov_b64 s[8:9], 0
	s_mov_b64 s[0:1], s[52:53]
	s_branch .LBB9_361
.LBB9_321:
	s_mov_b64 s[8:9], -1
	s_mov_b64 s[0:1], 0
	s_mov_b64 s[2:3], s[54:55]
                                        ; implicit-def: $vgpr3_vgpr4
	s_branch .LBB9_447
.LBB9_322:
	s_mov_b64 s[10:11], -1
	s_mov_b64 s[8:9], 0
	s_mov_b64 s[0:1], s[52:53]
	s_branch .LBB9_344
.LBB9_323:
	s_andn2_saveexec_b64 s[12:13], s[12:13]
	s_cbranch_execz .LBB9_76
.LBB9_324:
	s_mov_b32 s16, 0x46000000
	v_add_f32_e64 v3, |v2|, s16
	v_and_b32_e32 v3, 0xff, v3
	v_cmp_ne_u32_e32 vcc, 0, v3
	s_andn2_b64 s[10:11], s[10:11], exec
	s_and_b64 s[16:17], vcc, exec
	s_or_b64 s[10:11], s[10:11], s[16:17]
	s_or_b64 exec, exec, s[12:13]
	v_mov_b32_e32 v6, 0
	s_and_saveexec_b64 s[12:13], s[10:11]
	s_cbranch_execnz .LBB9_77
	s_branch .LBB9_78
.LBB9_325:
	s_mov_b64 s[8:9], -1
	s_mov_b64 s[0:1], 0
	s_mov_b64 s[2:3], s[54:55]
                                        ; implicit-def: $vgpr3_vgpr4
	s_branch .LBB9_330
.LBB9_326:
	s_mov_b64 s[10:11], -1
	s_mov_b64 s[8:9], 0
	s_mov_b64 s[0:1], s[52:53]
	s_branch .LBB9_340
.LBB9_327:
	s_andn2_saveexec_b64 s[12:13], s[12:13]
	s_cbranch_execz .LBB9_89
.LBB9_328:
	s_mov_b32 s16, 0x42800000
	v_add_f32_e64 v3, |v2|, s16
	v_and_b32_e32 v3, 0xff, v3
	v_cmp_ne_u32_e32 vcc, 0, v3
	s_andn2_b64 s[10:11], s[10:11], exec
	s_and_b64 s[16:17], vcc, exec
	s_or_b64 s[10:11], s[10:11], s[16:17]
	s_or_b64 exec, exec, s[12:13]
	v_mov_b32_e32 v6, 0
	s_and_saveexec_b64 s[12:13], s[10:11]
	s_cbranch_execnz .LBB9_90
	s_branch .LBB9_91
.LBB9_329:
	s_mov_b64 s[2:3], -1
                                        ; implicit-def: $vgpr3_vgpr4
	s_mov_b64 s[0:1], 0
.LBB9_330:
	s_and_b64 vcc, exec, s[8:9]
	s_cbranch_vccz .LBB9_446
; %bb.331:
	s_cmp_eq_u32 s12, 44
	s_cbranch_scc0 .LBB9_445
; %bb.332:
	global_load_ubyte v5, v[0:1], off
	s_movk_i32 s2, 0xff
	v_bfrev_b32_e32 v6, 4
	v_mov_b32_e32 v7, 0x7ff80000
	v_bfrev_b32_e32 v8, 28
	s_mov_b64 s[0:1], -1
	s_waitcnt vmcnt(0)
	v_lshlrev_b32_e32 v3, 23, v5
	v_cvt_f64_f32_e32 v[3:4], v3
	v_cmp_ne_u32_e32 vcc, s2, v5
	s_mov_b64 s[2:3], 0
	v_cndmask_b32_e32 v3, v6, v3, vcc
	v_cndmask_b32_e32 v4, v7, v4, vcc
	v_cmp_ne_u32_e32 vcc, 0, v5
	v_cndmask_b32_e32 v4, v8, v4, vcc
	v_cndmask_b32_e32 v3, 0, v3, vcc
	s_branch .LBB9_446
.LBB9_333:
	s_mov_b64 s[10:11], -1
	s_mov_b64 s[8:9], 0
	s_mov_b64 s[0:1], s[52:53]
.LBB9_334:
	s_and_b64 vcc, exec, s[10:11]
	s_cbranch_vccz .LBB9_339
; %bb.335:
	s_cmp_eq_u32 s15, 44
	s_mov_b64 s[0:1], -1
	s_cbranch_scc0 .LBB9_339
; %bb.336:
	v_cvt_f32_f64_e32 v2, v[0:1]
	s_movk_i32 s0, 0xff
	v_mov_b32_e32 v6, 0xff
	v_bfe_u32 v3, v2, 23, 8
	v_cmp_ne_u32_e32 vcc, s0, v3
	s_and_saveexec_b64 s[8:9], vcc
; %bb.337:
	s_mov_b32 s0, 0x3fffff
	v_lshrrev_b32_e32 v6, 23, v2
	v_and_b32_e32 v7, 0x400000, v2
	v_and_or_b32 v2, v2, s0, v3
	v_cmp_ne_u32_e32 vcc, 0, v7
	v_cmp_ne_u32_e64 s[0:1], 0, v2
	s_and_b64 s[0:1], vcc, s[0:1]
	v_cndmask_b32_e64 v2, 0, 1, s[0:1]
	v_add_u32_e32 v6, v6, v2
; %bb.338:
	s_or_b64 exec, exec, s[8:9]
	s_mov_b64 s[8:9], -1
	s_mov_b64 s[0:1], 0
	global_store_byte v[4:5], v6, off
.LBB9_339:
	s_mov_b64 s[10:11], 0
.LBB9_340:
	s_and_b64 vcc, exec, s[10:11]
	s_cbranch_vccz .LBB9_343
; %bb.341:
	s_cmp_eq_u32 s15, 29
	s_mov_b64 s[0:1], -1
	s_cbranch_scc0 .LBB9_343
; %bb.342:
	v_trunc_f64_e32 v[2:3], v[0:1]
	s_movk_i32 s0, 0xffe0
	s_mov_b64 s[8:9], -1
	s_mov_b64 s[10:11], 0
	v_ldexp_f64 v[6:7], v[2:3], s0
	s_mov_b32 s0, 0
	s_mov_b32 s1, 0xc1f00000
	v_floor_f64_e32 v[6:7], v[6:7]
	v_fma_f64 v[2:3], v[6:7], s[0:1], v[2:3]
	v_cvt_u32_f64_e32 v7, v[6:7]
	s_mov_b64 s[0:1], 0
	v_cvt_u32_f64_e32 v6, v[2:3]
	global_store_dwordx2 v[4:5], v[6:7], off
	s_branch .LBB9_344
.LBB9_343:
	s_mov_b64 s[10:11], 0
.LBB9_344:
	s_and_b64 vcc, exec, s[10:11]
	s_cbranch_vccz .LBB9_360
; %bb.345:
	s_cmp_lt_i32 s15, 27
	s_mov_b64 s[8:9], -1
	s_cbranch_scc1 .LBB9_351
; %bb.346:
	v_cvt_u32_f64_e32 v2, v[0:1]
	s_cmp_gt_i32 s15, 27
	s_cbranch_scc0 .LBB9_348
; %bb.347:
	s_mov_b64 s[8:9], 0
	global_store_dword v[4:5], v2, off
.LBB9_348:
	s_andn2_b64 vcc, exec, s[8:9]
	s_cbranch_vccnz .LBB9_350
; %bb.349:
	global_store_short v[4:5], v2, off
.LBB9_350:
	s_mov_b64 s[8:9], 0
.LBB9_351:
	s_andn2_b64 vcc, exec, s[8:9]
	s_cbranch_vccnz .LBB9_359
; %bb.352:
	v_cvt_f32_f64_e32 v2, v[0:1]
	s_mov_b32 s8, 0x43800000
	v_mov_b32_e32 v6, 0x80
	v_and_b32_e32 v3, 0x7fffffff, v2
	v_cmp_gt_u32_e32 vcc, s8, v3
	s_and_saveexec_b64 s[8:9], vcc
	s_cbranch_execz .LBB9_358
; %bb.353:
	s_mov_b32 s10, 0x3bffffff
	v_cmp_lt_u32_e32 vcc, s10, v3
	s_mov_b64 s[10:11], 0
                                        ; implicit-def: $vgpr3
	s_and_saveexec_b64 s[12:13], vcc
	s_xor_b64 s[12:13], exec, s[12:13]
	s_cbranch_execz .LBB9_586
; %bb.354:
	v_bfe_u32 v3, v2, 20, 1
	s_mov_b32 s16, 0x487ffff
	v_add3_u32 v3, v2, v3, s16
	s_mov_b64 s[10:11], exec
	v_lshrrev_b32_e32 v3, 20, v3
	s_andn2_saveexec_b64 s[12:13], s[12:13]
	s_cbranch_execnz .LBB9_587
.LBB9_355:
	s_or_b64 exec, exec, s[12:13]
	v_mov_b32_e32 v6, 0
	s_and_saveexec_b64 s[12:13], s[10:11]
.LBB9_356:
	v_lshrrev_b32_e32 v2, 24, v2
	s_movk_i32 s10, 0x80
	v_and_or_b32 v6, v2, s10, v3
.LBB9_357:
	s_or_b64 exec, exec, s[12:13]
.LBB9_358:
	s_or_b64 exec, exec, s[8:9]
	global_store_byte v[4:5], v6, off
.LBB9_359:
	s_mov_b64 s[8:9], -1
.LBB9_360:
	s_mov_b64 s[10:11], 0
.LBB9_361:
	s_and_b64 vcc, exec, s[10:11]
	s_cbranch_vccz .LBB9_402
; %bb.362:
	s_cmp_gt_i32 s15, 22
	s_mov_b64 s[10:11], -1
	s_cbranch_scc0 .LBB9_394
; %bb.363:
	s_cmp_lt_i32 s15, 24
	s_mov_b64 s[8:9], -1
	s_cbranch_scc1 .LBB9_383
; %bb.364:
	s_cmp_gt_i32 s15, 24
	s_cbranch_scc0 .LBB9_372
; %bb.365:
	v_cvt_f32_f64_e32 v2, v[0:1]
	s_mov_b32 s8, 0x47800000
	v_mov_b32_e32 v6, 0x80
	v_and_b32_e32 v3, 0x7fffffff, v2
	v_cmp_gt_u32_e32 vcc, s8, v3
	s_and_saveexec_b64 s[8:9], vcc
	s_cbranch_execz .LBB9_371
; %bb.366:
	s_mov_b32 s10, 0x37ffffff
	v_cmp_lt_u32_e32 vcc, s10, v3
	s_mov_b64 s[10:11], 0
                                        ; implicit-def: $vgpr3
	s_and_saveexec_b64 s[12:13], vcc
	s_xor_b64 s[12:13], exec, s[12:13]
	s_cbranch_execz .LBB9_589
; %bb.367:
	v_bfe_u32 v3, v2, 21, 1
	s_mov_b32 s16, 0x88fffff
	v_add3_u32 v3, v2, v3, s16
	s_mov_b64 s[10:11], exec
	v_lshrrev_b32_e32 v3, 21, v3
	s_andn2_saveexec_b64 s[12:13], s[12:13]
	s_cbranch_execnz .LBB9_590
.LBB9_368:
	s_or_b64 exec, exec, s[12:13]
	v_mov_b32_e32 v6, 0
	s_and_saveexec_b64 s[12:13], s[10:11]
.LBB9_369:
	v_lshrrev_b32_e32 v2, 24, v2
	s_movk_i32 s10, 0x80
	v_and_or_b32 v6, v2, s10, v3
.LBB9_370:
	s_or_b64 exec, exec, s[12:13]
.LBB9_371:
	s_or_b64 exec, exec, s[8:9]
	s_mov_b64 s[8:9], 0
	global_store_byte v[4:5], v6, off
.LBB9_372:
	s_and_b64 vcc, exec, s[8:9]
	s_cbranch_vccz .LBB9_382
; %bb.373:
	v_cvt_f32_f64_e32 v2, v[0:1]
	s_mov_b32 s8, 0x43f00000
                                        ; implicit-def: $vgpr3
	v_and_b32_e32 v6, 0x7fffffff, v2
	v_cmp_gt_u32_e32 vcc, s8, v6
	s_and_saveexec_b64 s[8:9], vcc
	s_xor_b64 s[8:9], exec, s[8:9]
	s_cbranch_execz .LBB9_379
; %bb.374:
	s_mov_b32 s10, 0x3c7fffff
	v_cmp_lt_u32_e32 vcc, s10, v6
                                        ; implicit-def: $vgpr3
	s_and_saveexec_b64 s[10:11], vcc
	s_xor_b64 s[10:11], exec, s[10:11]
; %bb.375:
	v_bfe_u32 v3, v2, 20, 1
	s_mov_b32 s12, 0x407ffff
	v_add3_u32 v3, v2, v3, s12
	v_lshrrev_b32_e32 v6, 20, v3
	v_and_b32_e32 v3, 0xff00000, v3
	s_mov_b32 s12, 0x7f00000
	v_mov_b32_e32 v7, 0x7e
	v_cmp_ne_u32_e32 vcc, s12, v3
	v_cndmask_b32_e32 v3, v7, v6, vcc
; %bb.376:
	s_andn2_saveexec_b64 s[10:11], s[10:11]
; %bb.377:
	s_mov_b32 s12, 0x46800000
	v_add_f32_e64 v3, |v2|, s12
; %bb.378:
	s_or_b64 exec, exec, s[10:11]
                                        ; implicit-def: $vgpr6
.LBB9_379:
	s_andn2_saveexec_b64 s[8:9], s[8:9]
; %bb.380:
	s_mov_b32 s10, 0x7f800000
	v_mov_b32_e32 v3, 0x7e
	v_mov_b32_e32 v7, 0x7f
	v_cmp_lt_u32_e32 vcc, s10, v6
	v_cndmask_b32_e32 v3, v3, v7, vcc
; %bb.381:
	s_or_b64 exec, exec, s[8:9]
	v_lshrrev_b32_e32 v2, 24, v2
	s_movk_i32 s8, 0x80
	v_and_or_b32 v2, v2, s8, v3
	global_store_byte v[4:5], v2, off
.LBB9_382:
	s_mov_b64 s[8:9], 0
.LBB9_383:
	s_andn2_b64 vcc, exec, s[8:9]
	s_cbranch_vccnz .LBB9_393
; %bb.384:
	v_cvt_f32_f64_e32 v2, v[0:1]
	s_mov_b32 s8, 0x47800000
                                        ; implicit-def: $vgpr3
	v_and_b32_e32 v6, 0x7fffffff, v2
	v_cmp_gt_u32_e32 vcc, s8, v6
	s_and_saveexec_b64 s[8:9], vcc
	s_xor_b64 s[8:9], exec, s[8:9]
	s_cbranch_execz .LBB9_390
; %bb.385:
	s_mov_b32 s10, 0x387fffff
	v_cmp_lt_u32_e32 vcc, s10, v6
                                        ; implicit-def: $vgpr3
	s_and_saveexec_b64 s[10:11], vcc
	s_xor_b64 s[10:11], exec, s[10:11]
; %bb.386:
	v_bfe_u32 v3, v2, 21, 1
	s_mov_b32 s12, 0x80fffff
	v_add3_u32 v3, v2, v3, s12
	v_lshrrev_b32_e32 v3, 21, v3
; %bb.387:
	s_andn2_saveexec_b64 s[10:11], s[10:11]
; %bb.388:
	s_mov_b32 s12, 0x43000000
	v_add_f32_e64 v3, |v2|, s12
; %bb.389:
	s_or_b64 exec, exec, s[10:11]
                                        ; implicit-def: $vgpr6
.LBB9_390:
	s_andn2_saveexec_b64 s[8:9], s[8:9]
; %bb.391:
	s_mov_b32 s10, 0x7f800000
	v_mov_b32_e32 v3, 0x7c
	v_mov_b32_e32 v7, 0x7f
	v_cmp_lt_u32_e32 vcc, s10, v6
	v_cndmask_b32_e32 v3, v3, v7, vcc
; %bb.392:
	s_or_b64 exec, exec, s[8:9]
	v_lshrrev_b32_e32 v2, 24, v2
	s_movk_i32 s8, 0x80
	v_and_or_b32 v2, v2, s8, v3
	global_store_byte v[4:5], v2, off
.LBB9_393:
	s_mov_b64 s[10:11], 0
	s_mov_b64 s[8:9], -1
.LBB9_394:
	s_andn2_b64 vcc, exec, s[10:11]
	s_cbranch_vccnz .LBB9_402
; %bb.395:
	s_cmp_gt_i32 s15, 14
	s_mov_b64 s[10:11], -1
	s_cbranch_scc0 .LBB9_399
; %bb.396:
	s_cmp_eq_u32 s15, 15
	s_mov_b64 s[0:1], -1
	s_cbranch_scc0 .LBB9_398
; %bb.397:
	v_cvt_f32_f64_e32 v2, v[0:1]
	s_movk_i32 s0, 0x7fff
	v_mov_b32_e32 v3, 0x7fc0
	s_mov_b64 s[8:9], -1
	v_bfe_u32 v6, v2, 16, 1
	v_cmp_o_f32_e32 vcc, v2, v2
	v_add3_u32 v2, v2, v6, s0
	v_cndmask_b32_sdwa v2, v3, v2, vcc dst_sel:DWORD dst_unused:UNUSED_PAD src0_sel:DWORD src1_sel:WORD_1
	global_store_short v[4:5], v2, off
	s_mov_b64 s[0:1], 0
.LBB9_398:
	s_mov_b64 s[10:11], 0
.LBB9_399:
	s_and_b64 vcc, exec, s[10:11]
	s_cbranch_vccz .LBB9_402
; %bb.400:
	s_cmp_eq_u32 s15, 11
	s_mov_b64 s[0:1], -1
	s_cbranch_scc0 .LBB9_402
; %bb.401:
	v_cmp_neq_f64_e32 vcc, 0, v[0:1]
	s_mov_b64 s[0:1], 0
	s_mov_b64 s[8:9], -1
	v_cndmask_b32_e64 v2, 0, 1, vcc
	global_store_byte v[4:5], v2, off
.LBB9_402:
	s_mov_b64 s[10:11], 0
.LBB9_403:
	s_and_b64 vcc, exec, s[10:11]
	s_cbranch_vccz .LBB9_442
; %bb.404:
	s_and_b32 s10, 0xffff, s14
	s_cmp_lt_i32 s10, 5
	s_mov_b64 s[8:9], -1
	s_cbranch_scc1 .LBB9_425
; %bb.405:
	s_cmp_lt_i32 s10, 8
	s_cbranch_scc1 .LBB9_415
; %bb.406:
	s_cmp_lt_i32 s10, 9
	s_cbranch_scc1 .LBB9_412
; %bb.407:
	s_cmp_gt_i32 s10, 9
	s_cbranch_scc0 .LBB9_409
; %bb.408:
	v_mov_b32_e32 v2, 0
	v_mov_b32_e32 v3, v2
	s_mov_b64 s[8:9], 0
	global_store_dwordx4 v[4:5], v[0:3], off
.LBB9_409:
	s_andn2_b64 vcc, exec, s[8:9]
	s_cbranch_vccnz .LBB9_411
; %bb.410:
	v_cvt_f32_f64_e32 v2, v[0:1]
	v_mov_b32_e32 v3, 0
	global_store_dwordx2 v[4:5], v[2:3], off
.LBB9_411:
	s_mov_b64 s[8:9], 0
.LBB9_412:
	s_andn2_b64 vcc, exec, s[8:9]
	s_cbranch_vccnz .LBB9_414
; %bb.413:
	s_movk_i32 s8, 0x1ff
	v_and_or_b32 v2, v1, s8, v0
	v_cmp_ne_u32_e32 vcc, 0, v2
	v_cndmask_b32_e64 v2, 0, 1, vcc
	v_lshrrev_b32_e32 v3, 8, v1
	s_movk_i32 s8, 0xffe
	v_bfe_u32 v6, v1, 20, 11
	v_and_or_b32 v2, v3, s8, v2
	v_sub_u32_e32 v7, 0x3f1, v6
	v_or_b32_e32 v3, 0x1000, v2
	v_med3_i32 v7, v7, 0, 13
	v_lshrrev_b32_e32 v8, v7, v3
	v_lshlrev_b32_e32 v7, v7, v8
	v_cmp_ne_u32_e32 vcc, v7, v3
	v_cndmask_b32_e64 v3, 0, 1, vcc
	v_add_u32_e32 v6, 0xfffffc10, v6
	v_or_b32_e32 v3, v8, v3
	v_lshl_or_b32 v7, v6, 12, v2
	v_cmp_gt_i32_e32 vcc, 1, v6
	v_cndmask_b32_e32 v3, v7, v3, vcc
	v_and_b32_e32 v7, 7, v3
	v_cmp_lt_i32_e32 vcc, 5, v7
	v_cndmask_b32_e64 v8, 0, 1, vcc
	v_cmp_eq_u32_e32 vcc, 3, v7
	v_cndmask_b32_e64 v7, 0, 1, vcc
	v_or_b32_e32 v7, v7, v8
	v_lshrrev_b32_e32 v3, 2, v3
	v_add_u32_e32 v3, v3, v7
	v_mov_b32_e32 v7, 0x7c00
	v_cmp_gt_i32_e32 vcc, 31, v6
	v_cndmask_b32_e32 v3, v7, v3, vcc
	v_mov_b32_e32 v8, 0x7e00
	v_cmp_ne_u32_e32 vcc, 0, v2
	s_movk_i32 s8, 0x40f
	v_cndmask_b32_e32 v2, v7, v8, vcc
	v_cmp_eq_u32_e32 vcc, s8, v6
	v_cndmask_b32_e32 v2, v3, v2, vcc
	v_lshrrev_b32_e32 v3, 16, v1
	s_mov_b32 s8, 0x8000
	v_and_or_b32 v2, v3, s8, v2
	v_and_b32_e32 v2, 0xffff, v2
	global_store_dword v[4:5], v2, off
.LBB9_414:
	s_mov_b64 s[8:9], 0
.LBB9_415:
	s_andn2_b64 vcc, exec, s[8:9]
	s_cbranch_vccnz .LBB9_424
; %bb.416:
	s_cmp_lt_i32 s10, 6
	s_mov_b64 s[8:9], -1
	s_cbranch_scc1 .LBB9_422
; %bb.417:
	s_cmp_gt_i32 s10, 6
	s_cbranch_scc0 .LBB9_419
; %bb.418:
	s_mov_b64 s[8:9], 0
	global_store_dwordx2 v[4:5], v[0:1], off
.LBB9_419:
	s_andn2_b64 vcc, exec, s[8:9]
	s_cbranch_vccnz .LBB9_421
; %bb.420:
	v_cvt_f32_f64_e32 v2, v[0:1]
	global_store_dword v[4:5], v2, off
.LBB9_421:
	s_mov_b64 s[8:9], 0
.LBB9_422:
	s_andn2_b64 vcc, exec, s[8:9]
	s_cbranch_vccnz .LBB9_424
; %bb.423:
	s_movk_i32 s8, 0x1ff
	v_and_or_b32 v2, v1, s8, v0
	v_cmp_ne_u32_e32 vcc, 0, v2
	v_cndmask_b32_e64 v2, 0, 1, vcc
	v_lshrrev_b32_e32 v3, 8, v1
	s_movk_i32 s8, 0xffe
	v_bfe_u32 v6, v1, 20, 11
	v_and_or_b32 v2, v3, s8, v2
	v_sub_u32_e32 v7, 0x3f1, v6
	v_or_b32_e32 v3, 0x1000, v2
	v_med3_i32 v7, v7, 0, 13
	v_lshrrev_b32_e32 v8, v7, v3
	v_lshlrev_b32_e32 v7, v7, v8
	v_cmp_ne_u32_e32 vcc, v7, v3
	v_cndmask_b32_e64 v3, 0, 1, vcc
	v_add_u32_e32 v6, 0xfffffc10, v6
	v_or_b32_e32 v3, v8, v3
	v_lshl_or_b32 v7, v6, 12, v2
	v_cmp_gt_i32_e32 vcc, 1, v6
	v_cndmask_b32_e32 v3, v7, v3, vcc
	v_and_b32_e32 v7, 7, v3
	v_cmp_lt_i32_e32 vcc, 5, v7
	v_cndmask_b32_e64 v8, 0, 1, vcc
	v_cmp_eq_u32_e32 vcc, 3, v7
	v_cndmask_b32_e64 v7, 0, 1, vcc
	v_or_b32_e32 v7, v7, v8
	v_lshrrev_b32_e32 v3, 2, v3
	v_add_u32_e32 v3, v3, v7
	v_mov_b32_e32 v7, 0x7c00
	v_cmp_gt_i32_e32 vcc, 31, v6
	v_cndmask_b32_e32 v3, v7, v3, vcc
	v_mov_b32_e32 v8, 0x7e00
	v_cmp_ne_u32_e32 vcc, 0, v2
	s_movk_i32 s8, 0x40f
	v_cndmask_b32_e32 v2, v7, v8, vcc
	v_cmp_eq_u32_e32 vcc, s8, v6
	v_cndmask_b32_e32 v2, v3, v2, vcc
	v_lshrrev_b32_e32 v3, 16, v1
	s_mov_b32 s8, 0x8000
	v_and_or_b32 v2, v3, s8, v2
	global_store_short v[4:5], v2, off
.LBB9_424:
	s_mov_b64 s[8:9], 0
.LBB9_425:
	s_andn2_b64 vcc, exec, s[8:9]
	s_cbranch_vccnz .LBB9_441
; %bb.426:
	s_cmp_lt_i32 s10, 2
	s_mov_b64 s[8:9], -1
	s_cbranch_scc1 .LBB9_436
; %bb.427:
	s_cmp_lt_i32 s10, 3
	s_cbranch_scc1 .LBB9_433
; %bb.428:
	s_cmp_gt_i32 s10, 3
	s_cbranch_scc0 .LBB9_430
; %bb.429:
	v_trunc_f64_e32 v[2:3], v[0:1]
	s_movk_i32 s8, 0xffe0
	v_ldexp_f64 v[6:7], v[2:3], s8
	s_mov_b32 s8, 0
	s_mov_b32 s9, 0xc1f00000
	v_floor_f64_e32 v[6:7], v[6:7]
	v_fma_f64 v[2:3], v[6:7], s[8:9], v[2:3]
	v_cvt_i32_f64_e32 v7, v[6:7]
	s_mov_b64 s[8:9], 0
	v_cvt_u32_f64_e32 v6, v[2:3]
	global_store_dwordx2 v[4:5], v[6:7], off
.LBB9_430:
	s_andn2_b64 vcc, exec, s[8:9]
	s_cbranch_vccnz .LBB9_432
; %bb.431:
	v_cvt_i32_f64_e32 v2, v[0:1]
	global_store_dword v[4:5], v2, off
.LBB9_432:
	s_mov_b64 s[8:9], 0
.LBB9_433:
	s_andn2_b64 vcc, exec, s[8:9]
	s_cbranch_vccnz .LBB9_435
; %bb.434:
	v_cvt_i32_f64_e32 v2, v[0:1]
	global_store_short v[4:5], v2, off
.LBB9_435:
	s_mov_b64 s[8:9], 0
.LBB9_436:
	s_andn2_b64 vcc, exec, s[8:9]
	s_cbranch_vccnz .LBB9_441
; %bb.437:
	s_cmp_gt_i32 s10, 0
	s_mov_b64 s[8:9], -1
	s_cbranch_scc0 .LBB9_439
; %bb.438:
	v_cvt_i32_f64_e32 v2, v[0:1]
	s_mov_b64 s[8:9], 0
	global_store_byte v[4:5], v2, off
.LBB9_439:
	s_andn2_b64 vcc, exec, s[8:9]
	s_cbranch_vccnz .LBB9_441
; %bb.440:
	v_trunc_f64_e32 v[0:1], v[0:1]
	s_movk_i32 s8, 0xffe0
	v_ldexp_f64 v[2:3], v[0:1], s8
	s_mov_b32 s8, 0
	s_mov_b32 s9, 0xc1f00000
	v_floor_f64_e32 v[2:3], v[2:3]
	v_fma_f64 v[0:1], v[2:3], s[8:9], v[0:1]
	v_cvt_u32_f64_e32 v0, v[0:1]
	global_store_byte v[4:5], v0, off
.LBB9_441:
	s_mov_b64 s[8:9], -1
.LBB9_442:
	s_andn2_b64 vcc, exec, s[8:9]
	s_cbranch_vccnz .LBB9_444
; %bb.443:
	v_add_u32_e32 v11, 0x80, v11
	s_mov_b64 s[8:9], -1
	s_branch .LBB9_557
.LBB9_444:
	s_mov_b64 s[8:9], 0
	s_branch .LBB9_556
.LBB9_445:
	s_mov_b64 s[2:3], -1
                                        ; implicit-def: $vgpr3_vgpr4
.LBB9_446:
	s_mov_b64 s[8:9], 0
.LBB9_447:
	s_and_b64 vcc, exec, s[8:9]
	s_cbranch_vccz .LBB9_451
; %bb.448:
	s_cmp_eq_u32 s12, 29
	s_cbranch_scc0 .LBB9_450
; %bb.449:
	global_load_dwordx2 v[3:4], v[0:1], off
	s_mov_b64 s[0:1], -1
	s_mov_b64 s[2:3], 0
	s_mov_b64 s[8:9], 0
	s_waitcnt vmcnt(0)
	v_cvt_f64_u32_e32 v[4:5], v4
	v_cvt_f64_u32_e32 v[6:7], v3
	v_ldexp_f64 v[4:5], v[4:5], 32
	v_add_f64 v[3:4], v[4:5], v[6:7]
	s_branch .LBB9_452
.LBB9_450:
	s_mov_b64 s[2:3], -1
                                        ; implicit-def: $vgpr3_vgpr4
.LBB9_451:
	s_mov_b64 s[8:9], 0
.LBB9_452:
	s_and_b64 vcc, exec, s[8:9]
	s_cbranch_vccz .LBB9_472
; %bb.453:
	s_cmp_lt_i32 s12, 27
	s_cbranch_scc1 .LBB9_456
; %bb.454:
	s_cmp_gt_i32 s12, 27
	s_cbranch_scc0 .LBB9_457
; %bb.455:
	global_load_dword v3, v[0:1], off
	s_mov_b64 s[0:1], 0
	s_waitcnt vmcnt(0)
	v_cvt_f64_u32_e32 v[3:4], v3
	s_branch .LBB9_458
.LBB9_456:
	s_mov_b64 s[0:1], -1
                                        ; implicit-def: $vgpr3_vgpr4
	s_branch .LBB9_461
.LBB9_457:
	s_mov_b64 s[0:1], -1
                                        ; implicit-def: $vgpr3_vgpr4
.LBB9_458:
	s_andn2_b64 vcc, exec, s[0:1]
	s_cbranch_vccnz .LBB9_460
; %bb.459:
	global_load_ushort v3, v[0:1], off
	s_waitcnt vmcnt(0)
	v_cvt_f64_u32_e32 v[3:4], v3
.LBB9_460:
	s_mov_b64 s[0:1], 0
.LBB9_461:
	s_andn2_b64 vcc, exec, s[0:1]
	s_cbranch_vccnz .LBB9_471
; %bb.462:
	global_load_ubyte v5, v[0:1], off
	s_movk_i32 s0, 0x7f
	s_waitcnt vmcnt(0)
	v_cmp_lt_i16_e32 vcc, s0, v5
	s_mov_b64 s[0:1], 0
	s_and_saveexec_b64 s[8:9], vcc
	s_xor_b64 s[8:9], exec, s[8:9]
	s_cbranch_execz .LBB9_466
; %bb.463:
	s_movk_i32 s0, 0x80
	v_cmp_eq_u16_e32 vcc, s0, v5
	s_mov_b64 s[0:1], -1
	s_and_saveexec_b64 s[10:11], vcc
; %bb.464:
	s_xor_b64 s[0:1], exec, -1
; %bb.465:
	s_or_b64 exec, exec, s[10:11]
	s_and_b64 s[0:1], s[0:1], exec
.LBB9_466:
	s_or_saveexec_b64 s[8:9], s[8:9]
	v_bfrev_b32_e32 v3, 4
	v_mov_b32_e32 v4, 0x7ff80000
	s_xor_b64 exec, exec, s[8:9]
; %bb.467:
	v_cmp_ne_u16_e32 vcc, 0, v5
	v_mov_b32_e32 v3, 0
	s_andn2_b64 s[0:1], s[0:1], exec
	s_and_b64 s[10:11], vcc, exec
	v_mov_b32_e32 v4, 0
	s_or_b64 s[0:1], s[0:1], s[10:11]
; %bb.468:
	s_or_b64 exec, exec, s[8:9]
	s_and_saveexec_b64 s[8:9], s[0:1]
	s_cbranch_execz .LBB9_470
; %bb.469:
	v_and_b32_e32 v4, 0xffff, v5
	v_lshlrev_b32_e32 v3, 24, v5
	v_and_b32_e32 v5, 7, v4
	v_ffbh_u32_e32 v7, v5
	v_min_u32_e32 v7, 32, v7
	v_subrev_u32_e32 v8, 28, v7
	v_bfe_u32 v6, v4, 3, 4
	v_lshlrev_b32_e32 v4, v8, v4
	v_sub_u32_e32 v7, 29, v7
	v_and_b32_e32 v4, 7, v4
	v_cmp_eq_u32_e32 vcc, 0, v6
	v_cndmask_b32_e32 v6, v6, v7, vcc
	v_cndmask_b32_e32 v4, v5, v4, vcc
	v_mov_b32_e32 v5, 0x3b800000
	v_lshlrev_b32_e32 v4, 20, v4
	v_and_b32_e32 v3, 0x80000000, v3
	v_lshl_add_u32 v5, v6, 23, v5
	v_or3_b32 v3, v3, v5, v4
	v_cvt_f64_f32_e32 v[3:4], v3
.LBB9_470:
	s_or_b64 exec, exec, s[8:9]
.LBB9_471:
	s_mov_b64 s[0:1], -1
.LBB9_472:
	s_mov_b64 s[8:9], 0
.LBB9_473:
	s_and_b64 vcc, exec, s[8:9]
	s_cbranch_vccz .LBB9_506
; %bb.474:
	s_cmp_gt_i32 s12, 22
	s_cbranch_scc0 .LBB9_486
; %bb.475:
	s_cmp_lt_i32 s12, 24
	s_cbranch_scc1 .LBB9_487
; %bb.476:
	s_cmp_gt_i32 s12, 24
	s_cbranch_scc0 .LBB9_488
; %bb.477:
	global_load_ubyte v5, v[0:1], off
	s_movk_i32 s0, 0x7f
	s_waitcnt vmcnt(0)
	v_cmp_lt_i16_e32 vcc, s0, v5
	s_mov_b64 s[0:1], 0
	s_and_saveexec_b64 s[8:9], vcc
	s_xor_b64 s[8:9], exec, s[8:9]
	s_cbranch_execz .LBB9_481
; %bb.478:
	s_movk_i32 s0, 0x80
	v_cmp_eq_u16_e32 vcc, s0, v5
	s_mov_b64 s[0:1], -1
	s_and_saveexec_b64 s[10:11], vcc
; %bb.479:
	s_xor_b64 s[0:1], exec, -1
; %bb.480:
	s_or_b64 exec, exec, s[10:11]
	s_and_b64 s[0:1], s[0:1], exec
.LBB9_481:
	s_or_saveexec_b64 s[8:9], s[8:9]
	v_bfrev_b32_e32 v3, 4
	v_mov_b32_e32 v4, 0x7ff80000
	s_xor_b64 exec, exec, s[8:9]
; %bb.482:
	v_cmp_ne_u16_e32 vcc, 0, v5
	v_mov_b32_e32 v3, 0
	s_andn2_b64 s[0:1], s[0:1], exec
	s_and_b64 s[10:11], vcc, exec
	v_mov_b32_e32 v4, 0
	s_or_b64 s[0:1], s[0:1], s[10:11]
; %bb.483:
	s_or_b64 exec, exec, s[8:9]
	s_and_saveexec_b64 s[8:9], s[0:1]
	s_cbranch_execz .LBB9_485
; %bb.484:
	v_and_b32_e32 v4, 0xffff, v5
	v_lshlrev_b32_e32 v3, 24, v5
	v_and_b32_e32 v5, 3, v4
	v_ffbh_u32_e32 v7, v5
	v_min_u32_e32 v7, 32, v7
	v_subrev_u32_e32 v8, 29, v7
	v_bfe_u32 v6, v4, 2, 5
	v_lshlrev_b32_e32 v4, v8, v4
	v_sub_u32_e32 v7, 30, v7
	v_and_b32_e32 v4, 3, v4
	v_cmp_eq_u32_e32 vcc, 0, v6
	v_cndmask_b32_e32 v6, v6, v7, vcc
	v_cndmask_b32_e32 v4, v5, v4, vcc
	v_mov_b32_e32 v5, 0x37800000
	v_lshlrev_b32_e32 v4, 21, v4
	v_and_b32_e32 v3, 0x80000000, v3
	v_lshl_add_u32 v5, v6, 23, v5
	v_or3_b32 v3, v3, v5, v4
	v_cvt_f64_f32_e32 v[3:4], v3
.LBB9_485:
	s_or_b64 exec, exec, s[8:9]
	s_mov_b64 s[0:1], 0
	s_branch .LBB9_489
.LBB9_486:
	s_mov_b64 s[8:9], -1
                                        ; implicit-def: $vgpr3_vgpr4
	s_branch .LBB9_495
.LBB9_487:
	s_mov_b64 s[0:1], -1
                                        ; implicit-def: $vgpr3_vgpr4
	s_branch .LBB9_492
.LBB9_488:
	s_mov_b64 s[0:1], -1
                                        ; implicit-def: $vgpr3_vgpr4
.LBB9_489:
	s_and_b64 vcc, exec, s[0:1]
	s_cbranch_vccz .LBB9_491
; %bb.490:
	global_load_ubyte v3, v[0:1], off
	s_mov_b32 s0, 0x7f800000
	s_waitcnt vmcnt(0)
	v_lshlrev_b32_e32 v3, 24, v3
	v_and_b32_e32 v4, 0x7f000000, v3
	v_ffbh_u32_e32 v5, v4
	v_min_u32_e32 v5, 32, v5
	v_sub_u32_e64 v5, v5, 4 clamp
	v_lshlrev_b32_e32 v7, v5, v4
	v_lshlrev_b32_e32 v5, 23, v5
	v_lshrrev_b32_e32 v7, 4, v7
	v_add_u32_e32 v6, 0x1000000, v4
	v_sub_u32_e32 v5, v7, v5
	v_ashrrev_i32_e32 v6, 8, v6
	v_add_u32_e32 v5, 0x3c000000, v5
	v_and_or_b32 v5, v6, s0, v5
	v_cmp_ne_u32_e32 vcc, 0, v4
	v_cndmask_b32_e32 v4, 0, v5, vcc
	s_brev_b32 s0, 1
	v_and_or_b32 v3, v3, s0, v4
	v_cvt_f64_f32_e32 v[3:4], v3
.LBB9_491:
	s_mov_b64 s[0:1], 0
.LBB9_492:
	s_andn2_b64 vcc, exec, s[0:1]
	s_cbranch_vccnz .LBB9_494
; %bb.493:
	global_load_ubyte v3, v[0:1], off
	s_movk_i32 s0, 0x7f00
	s_brev_b32 s1, 16
	s_waitcnt vmcnt(0)
	v_lshlrev_b16_e32 v4, 8, v3
	v_lshlrev_b32_e32 v3, 25, v3
	v_lshrrev_b32_e32 v5, 4, v3
	v_and_or_b32 v6, v4, s0, 0.5
	v_or_b32_e32 v5, 0x70000000, v5
	v_add_f32_e32 v6, -0.5, v6
	v_mul_f32_e32 v5, 0x7800000, v5
	v_cmp_gt_u32_e32 vcc, s1, v3
	v_bfe_i32 v4, v4, 0, 16
	v_cndmask_b32_e32 v3, v5, v6, vcc
	s_brev_b32 s0, 1
	v_and_or_b32 v3, v4, s0, v3
	v_cvt_f64_f32_e32 v[3:4], v3
.LBB9_494:
	s_mov_b64 s[8:9], 0
	s_mov_b64 s[0:1], -1
.LBB9_495:
	s_andn2_b64 vcc, exec, s[8:9]
	s_cbranch_vccnz .LBB9_506
; %bb.496:
	s_cmp_gt_i32 s12, 14
	s_cbranch_scc0 .LBB9_499
; %bb.497:
	s_cmp_eq_u32 s12, 15
	s_cbranch_scc0 .LBB9_500
; %bb.498:
	global_load_ushort v3, v[0:1], off
	s_mov_b64 s[0:1], -1
	s_mov_b64 s[2:3], 0
	s_waitcnt vmcnt(0)
	v_lshlrev_b32_e32 v3, 16, v3
	v_cvt_f64_f32_e32 v[3:4], v3
	s_branch .LBB9_501
.LBB9_499:
	s_mov_b64 s[8:9], -1
                                        ; implicit-def: $vgpr3_vgpr4
	s_branch .LBB9_502
.LBB9_500:
	s_mov_b64 s[2:3], -1
                                        ; implicit-def: $vgpr3_vgpr4
.LBB9_501:
	s_mov_b64 s[8:9], 0
.LBB9_502:
	s_and_b64 vcc, exec, s[8:9]
	s_cbranch_vccz .LBB9_506
; %bb.503:
	s_cmp_eq_u32 s12, 11
	s_cbranch_scc0 .LBB9_505
; %bb.504:
	global_load_ubyte v4, v[0:1], off
	v_mov_b32_e32 v5, 0x3ff00000
	s_waitcnt vmcnt(1)
	v_mov_b32_e32 v3, 0
	s_mov_b64 s[0:1], -1
	s_mov_b64 s[2:3], 0
	s_waitcnt vmcnt(0)
	v_cmp_ne_u16_e32 vcc, 0, v4
	v_cndmask_b32_e32 v4, 0, v5, vcc
	s_branch .LBB9_506
.LBB9_505:
	s_mov_b64 s[2:3], -1
                                        ; implicit-def: $vgpr3_vgpr4
.LBB9_506:
	s_branch .LBB9_301
.LBB9_507:
	s_cmp_lt_i32 s12, 5
	s_cbranch_scc1 .LBB9_512
; %bb.508:
	s_cmp_lt_i32 s12, 8
	s_cbranch_scc1 .LBB9_513
; %bb.509:
	;; [unrolled: 3-line block ×3, first 2 shown]
	s_cmp_gt_i32 s12, 9
	s_cbranch_scc0 .LBB9_515
; %bb.511:
	global_load_dwordx2 v[3:4], v[0:1], off
	s_mov_b64 s[0:1], 0
	s_branch .LBB9_516
.LBB9_512:
	s_mov_b64 s[0:1], -1
                                        ; implicit-def: $vgpr3_vgpr4
	s_branch .LBB9_534
.LBB9_513:
	s_mov_b64 s[0:1], -1
                                        ; implicit-def: $vgpr3_vgpr4
	s_branch .LBB9_522
.LBB9_514:
	s_mov_b64 s[0:1], -1
                                        ; implicit-def: $vgpr3_vgpr4
	s_branch .LBB9_519
.LBB9_515:
	s_mov_b64 s[0:1], -1
                                        ; implicit-def: $vgpr3_vgpr4
.LBB9_516:
	s_andn2_b64 vcc, exec, s[0:1]
	s_cbranch_vccnz .LBB9_518
; %bb.517:
	global_load_dword v3, v[0:1], off
	s_waitcnt vmcnt(0)
	v_cvt_f64_f32_e32 v[3:4], v3
.LBB9_518:
	s_mov_b64 s[0:1], 0
.LBB9_519:
	s_andn2_b64 vcc, exec, s[0:1]
	s_cbranch_vccnz .LBB9_521
; %bb.520:
	global_load_dword v3, v[0:1], off
	s_waitcnt vmcnt(0)
	v_cvt_f32_f16_e32 v3, v3
	v_cvt_f64_f32_e32 v[3:4], v3
.LBB9_521:
	s_mov_b64 s[0:1], 0
.LBB9_522:
	s_andn2_b64 vcc, exec, s[0:1]
	s_cbranch_vccnz .LBB9_533
; %bb.523:
	s_cmp_lt_i32 s12, 6
	s_cbranch_scc1 .LBB9_526
; %bb.524:
	s_cmp_gt_i32 s12, 6
	s_cbranch_scc0 .LBB9_527
; %bb.525:
	global_load_dwordx2 v[3:4], v[0:1], off
	s_mov_b64 s[0:1], 0
	s_branch .LBB9_528
.LBB9_526:
	s_mov_b64 s[0:1], -1
                                        ; implicit-def: $vgpr3_vgpr4
	s_branch .LBB9_531
.LBB9_527:
	s_mov_b64 s[0:1], -1
                                        ; implicit-def: $vgpr3_vgpr4
.LBB9_528:
	s_andn2_b64 vcc, exec, s[0:1]
	s_cbranch_vccnz .LBB9_530
; %bb.529:
	global_load_dword v3, v[0:1], off
	s_waitcnt vmcnt(0)
	v_cvt_f64_f32_e32 v[3:4], v3
.LBB9_530:
	s_mov_b64 s[0:1], 0
.LBB9_531:
	s_andn2_b64 vcc, exec, s[0:1]
	s_cbranch_vccnz .LBB9_533
; %bb.532:
	global_load_ushort v3, v[0:1], off
	s_waitcnt vmcnt(0)
	v_cvt_f32_f16_e32 v3, v3
	v_cvt_f64_f32_e32 v[3:4], v3
.LBB9_533:
	s_mov_b64 s[0:1], 0
.LBB9_534:
	s_andn2_b64 vcc, exec, s[0:1]
	s_cbranch_vccnz .LBB9_554
; %bb.535:
	s_cmp_lt_i32 s12, 2
	s_cbranch_scc1 .LBB9_539
; %bb.536:
	s_cmp_lt_i32 s12, 3
	s_cbranch_scc1 .LBB9_540
; %bb.537:
	s_cmp_gt_i32 s12, 3
	s_cbranch_scc0 .LBB9_541
; %bb.538:
	global_load_dwordx2 v[3:4], v[0:1], off
	s_mov_b64 s[0:1], 0
	s_waitcnt vmcnt(0)
	v_cvt_f64_i32_e32 v[4:5], v4
	v_cvt_f64_u32_e32 v[6:7], v3
	v_ldexp_f64 v[4:5], v[4:5], 32
	v_add_f64 v[3:4], v[4:5], v[6:7]
	s_branch .LBB9_542
.LBB9_539:
	s_mov_b64 s[0:1], -1
                                        ; implicit-def: $vgpr3_vgpr4
	s_branch .LBB9_548
.LBB9_540:
	s_mov_b64 s[0:1], -1
                                        ; implicit-def: $vgpr3_vgpr4
	s_branch .LBB9_545
.LBB9_541:
	s_mov_b64 s[0:1], -1
                                        ; implicit-def: $vgpr3_vgpr4
.LBB9_542:
	s_andn2_b64 vcc, exec, s[0:1]
	s_cbranch_vccnz .LBB9_544
; %bb.543:
	global_load_dword v3, v[0:1], off
	s_waitcnt vmcnt(0)
	v_cvt_f64_i32_e32 v[3:4], v3
.LBB9_544:
	s_mov_b64 s[0:1], 0
.LBB9_545:
	s_andn2_b64 vcc, exec, s[0:1]
	s_cbranch_vccnz .LBB9_547
; %bb.546:
	global_load_sshort v3, v[0:1], off
	s_waitcnt vmcnt(0)
	v_cvt_f64_i32_e32 v[3:4], v3
.LBB9_547:
	s_mov_b64 s[0:1], 0
.LBB9_548:
	s_andn2_b64 vcc, exec, s[0:1]
	s_cbranch_vccnz .LBB9_554
; %bb.549:
	s_cmp_gt_i32 s12, 0
	s_cbranch_scc0 .LBB9_551
; %bb.550:
	global_load_sbyte v3, v[0:1], off
	s_mov_b64 s[0:1], 0
	s_waitcnt vmcnt(0)
	v_cvt_f64_i32_e32 v[3:4], v3
	s_branch .LBB9_552
.LBB9_551:
	s_mov_b64 s[0:1], -1
                                        ; implicit-def: $vgpr3_vgpr4
.LBB9_552:
	s_andn2_b64 vcc, exec, s[0:1]
	s_cbranch_vccnz .LBB9_554
; %bb.553:
	global_load_ubyte v0, v[0:1], off
	s_waitcnt vmcnt(0)
	v_cvt_f64_u32_e32 v[3:4], v0
.LBB9_554:
	s_branch .LBB9_302
.LBB9_555:
	s_mov_b64 s[8:9], 0
	s_mov_b64 s[0:1], s[52:53]
.LBB9_556:
                                        ; implicit-def: $vgpr11
.LBB9_557:
	s_andn2_b64 s[10:11], s[52:53], exec
	s_and_b64 s[0:1], s[0:1], exec
	s_or_b64 s[60:61], s[10:11], s[0:1]
	s_andn2_b64 s[0:1], s[54:55], exec
	s_and_b64 s[2:3], s[2:3], exec
	s_or_b64 s[58:59], s[0:1], s[2:3]
	s_orn2_b64 s[0:1], s[8:9], exec
.LBB9_558:
	s_or_b64 exec, exec, s[62:63]
	s_mov_b64 s[2:3], 0
	s_mov_b64 s[8:9], 0
	;; [unrolled: 1-line block ×3, first 2 shown]
                                        ; implicit-def: $vgpr0_vgpr1
                                        ; implicit-def: $vgpr2
                                        ; implicit-def: $vgpr3_vgpr4
	s_and_saveexec_b64 s[62:63], s[0:1]
	s_cbranch_execz .LBB9_941
; %bb.559:
	v_cmp_gt_i32_e32 vcc, s75, v11
	s_mov_b64 s[2:3], -1
	s_mov_b64 s[66:67], s[58:59]
	s_mov_b64 s[68:69], s[60:61]
	s_and_saveexec_b64 s[64:65], vcc
	s_cbranch_execz .LBB9_841
; %bb.560:
	s_andn2_b64 vcc, exec, s[42:43]
	s_cbranch_vccnz .LBB9_565
; %bb.561:
	s_andn2_b64 vcc, exec, s[50:51]
	s_cbranch_vccnz .LBB9_566
; %bb.562:
	s_add_i32 s71, s76, 1
	s_cmp_eq_u32 s72, 2
	s_cbranch_scc1 .LBB9_567
; %bb.563:
	s_and_b32 s70, s71, 28
	v_mov_b32_e32 v0, 0
	s_mov_b32 s77, 0
	s_mov_b64 s[66:67], s[34:35]
	s_mov_b64 s[68:69], s[48:49]
	v_mov_b32_e32 v2, 0
	v_mov_b32_e32 v1, v11
.LBB9_564:                              ; =>This Inner Loop Header: Depth=1
	s_load_dwordx8 s[16:23], s[66:67], 0x4
	s_load_dwordx4 s[0:3], s[66:67], 0x24
	s_load_dwordx8 s[8:15], s[68:69], 0x0
	s_add_u32 s66, s66, 48
	s_addc_u32 s67, s67, 0
	s_waitcnt vmcnt(0) lgkmcnt(0)
	v_mul_hi_u32 v3, s17, v1
	s_add_i32 s77, s77, 4
	s_add_u32 s68, s68, 32
	s_addc_u32 s69, s69, 0
	v_add_u32_e32 v3, v1, v3
	v_lshrrev_b32_e32 v3, s18, v3
	v_mul_lo_u32 v4, v3, s16
	v_mul_hi_u32 v5, s20, v3
	s_cmp_eq_u32 s70, s77
	v_sub_u32_e32 v1, v1, v4
	v_add_u32_e32 v4, v3, v5
	v_mul_lo_u32 v5, v1, s8
	v_mul_lo_u32 v6, v1, s9
	v_lshrrev_b32_e32 v1, s21, v4
	v_mul_lo_u32 v4, v1, s19
	v_mul_hi_u32 v7, s23, v1
	v_sub_u32_e32 v3, v3, v4
	v_add_u32_e32 v4, v1, v7
	v_lshrrev_b32_e32 v4, s0, v4
	v_mul_hi_u32 v8, s2, v4
	v_mul_lo_u32 v9, v4, s22
	v_mul_lo_u32 v7, v3, s10
	;; [unrolled: 1-line block ×3, first 2 shown]
	v_sub_u32_e32 v9, v1, v9
	v_add_u32_e32 v1, v4, v8
	v_lshrrev_b32_e32 v1, s3, v1
	v_mul_lo_u32 v8, v1, s1
	v_mul_lo_u32 v10, v9, s12
	;; [unrolled: 1-line block ×3, first 2 shown]
	v_add3_u32 v2, v5, v2, v7
	v_sub_u32_e32 v4, v4, v8
	v_mul_lo_u32 v8, v4, s14
	v_mul_lo_u32 v4, v4, s15
	v_add3_u32 v0, v6, v0, v3
	v_add3_u32 v2, v10, v2, v8
	;; [unrolled: 1-line block ×3, first 2 shown]
	s_cbranch_scc0 .LBB9_564
	s_branch .LBB9_568
.LBB9_565:
	s_mov_b64 s[0:1], -1
                                        ; implicit-def: $vgpr2
                                        ; implicit-def: $vgpr0
	s_branch .LBB9_572
.LBB9_566:
	v_mov_b32_e32 v2, 0
	v_mov_b32_e32 v0, 0
	s_branch .LBB9_571
.LBB9_567:
	s_mov_b32 s70, 0
	v_mov_b32_e32 v2, 0
	v_mov_b32_e32 v0, 0
	;; [unrolled: 1-line block ×3, first 2 shown]
.LBB9_568:
	s_and_b32 s8, s71, 3
	s_cmp_eq_u32 s8, 0
	s_cbranch_scc1 .LBB9_571
; %bb.569:
	s_lshl_b32 s0, s70, 3
	s_add_u32 s0, s34, s0
	s_addc_u32 s1, s35, 0
	s_add_u32 s0, s0, 0xc4
	s_addc_u32 s1, s1, 0
	s_mul_i32 s2, s70, 12
	s_add_u32 s2, s34, s2
	s_addc_u32 s3, s35, 0
.LBB9_570:                              ; =>This Inner Loop Header: Depth=1
	s_load_dwordx2 s[10:11], s[2:3], 0x4
	s_load_dword s9, s[2:3], 0xc
	s_load_dwordx2 s[12:13], s[0:1], 0x0
	s_add_u32 s2, s2, 12
	s_addc_u32 s3, s3, 0
	s_waitcnt vmcnt(0) lgkmcnt(0)
	v_mul_hi_u32 v3, s11, v1
	s_add_u32 s0, s0, 8
	s_addc_u32 s1, s1, 0
	s_add_i32 s8, s8, -1
	v_add_u32_e32 v3, v1, v3
	v_lshrrev_b32_e32 v4, s9, v3
	v_mul_lo_u32 v3, v4, s10
	s_cmp_lg_u32 s8, 0
	v_sub_u32_e32 v1, v1, v3
	v_mad_u64_u32 v[2:3], s[10:11], v1, s12, v[2:3]
	v_mad_u64_u32 v[0:1], s[10:11], v1, s13, v[0:1]
	v_mov_b32_e32 v1, v4
	s_cbranch_scc1 .LBB9_570
.LBB9_571:
	s_mov_b64 s[0:1], 0
.LBB9_572:
	s_andn2_b64 vcc, exec, s[0:1]
	s_cbranch_vccnz .LBB9_575
; %bb.573:
	s_waitcnt lgkmcnt(0)
	v_mul_hi_u32 v0, s37, v11
	s_andn2_b64 vcc, exec, s[46:47]
	v_add_u32_e32 v0, v11, v0
	v_lshrrev_b32_e32 v1, s38, v0
	v_mul_lo_u32 v0, v1, s36
	v_sub_u32_e32 v0, v11, v0
	v_mul_lo_u32 v2, v0, s28
	v_mul_lo_u32 v0, v0, s29
	s_cbranch_vccnz .LBB9_575
; %bb.574:
	s_waitcnt vmcnt(0)
	v_mul_hi_u32 v3, s6, v1
	v_add_u32_e32 v3, v1, v3
	v_lshrrev_b32_e32 v3, s7, v3
	v_mul_lo_u32 v3, v3, s39
	v_sub_u32_e32 v1, v1, v3
	v_mad_u64_u32 v[2:3], s[0:1], v1, s30, v[2:3]
	v_mad_u64_u32 v[0:1], s[0:1], v1, s31, v[0:1]
.LBB9_575:
	s_waitcnt lgkmcnt(0)
	v_mov_b32_e32 v1, s27
	s_and_b32 s12, 0xffff, s74
	v_add_co_u32_e32 v0, vcc, s26, v0
	s_cmp_lt_i32 s12, 11
	v_addc_co_u32_e32 v1, vcc, 0, v1, vcc
	s_cbranch_scc1 .LBB9_582
; %bb.576:
	s_cmp_gt_i32 s12, 25
	s_cbranch_scc0 .LBB9_583
; %bb.577:
	s_cmp_gt_i32 s12, 28
	s_cbranch_scc0 .LBB9_584
	;; [unrolled: 3-line block ×4, first 2 shown]
; %bb.580:
	s_cmp_eq_u32 s12, 46
	s_mov_b64 s[8:9], 0
	s_cbranch_scc0 .LBB9_591
; %bb.581:
	global_load_dword v3, v[0:1], off
	s_mov_b64 s[0:1], -1
	s_mov_b64 s[2:3], 0
	s_waitcnt vmcnt(0)
	v_lshlrev_b32_e32 v3, 16, v3
	v_cvt_f64_f32_e32 v[3:4], v3
	s_branch .LBB9_592
.LBB9_582:
	s_mov_b64 s[8:9], -1
	s_mov_b64 s[0:1], 0
                                        ; implicit-def: $vgpr3_vgpr4
	s_mov_b64 s[2:3], s[58:59]
	s_branch .LBB9_657
.LBB9_583:
	s_mov_b64 s[8:9], -1
	s_mov_b64 s[0:1], 0
	s_mov_b64 s[2:3], s[58:59]
                                        ; implicit-def: $vgpr3_vgpr4
	s_branch .LBB9_623
.LBB9_584:
	s_mov_b64 s[8:9], -1
	s_mov_b64 s[0:1], 0
	s_mov_b64 s[2:3], s[58:59]
                                        ; implicit-def: $vgpr3_vgpr4
	s_branch .LBB9_602
.LBB9_585:
	s_mov_b64 s[8:9], -1
	s_mov_b64 s[0:1], 0
	s_mov_b64 s[2:3], s[58:59]
                                        ; implicit-def: $vgpr3_vgpr4
	s_branch .LBB9_597
.LBB9_586:
	s_andn2_saveexec_b64 s[12:13], s[12:13]
	s_cbranch_execz .LBB9_355
.LBB9_587:
	s_mov_b32 s16, 0x46000000
	v_add_f32_e64 v3, |v2|, s16
	v_and_b32_e32 v3, 0xff, v3
	v_cmp_ne_u32_e32 vcc, 0, v3
	s_andn2_b64 s[10:11], s[10:11], exec
	s_and_b64 s[16:17], vcc, exec
	s_or_b64 s[10:11], s[10:11], s[16:17]
	s_or_b64 exec, exec, s[12:13]
	v_mov_b32_e32 v6, 0
	s_and_saveexec_b64 s[12:13], s[10:11]
	s_cbranch_execnz .LBB9_356
	s_branch .LBB9_357
.LBB9_588:
	s_mov_b64 s[8:9], -1
	s_mov_b64 s[0:1], 0
	s_mov_b64 s[2:3], s[58:59]
                                        ; implicit-def: $vgpr3_vgpr4
	s_branch .LBB9_592
.LBB9_589:
	s_andn2_saveexec_b64 s[12:13], s[12:13]
	s_cbranch_execz .LBB9_368
.LBB9_590:
	s_mov_b32 s16, 0x42800000
	v_add_f32_e64 v3, |v2|, s16
	v_and_b32_e32 v3, 0xff, v3
	v_cmp_ne_u32_e32 vcc, 0, v3
	s_andn2_b64 s[10:11], s[10:11], exec
	s_and_b64 s[16:17], vcc, exec
	s_or_b64 s[10:11], s[10:11], s[16:17]
	s_or_b64 exec, exec, s[12:13]
	v_mov_b32_e32 v6, 0
	s_and_saveexec_b64 s[12:13], s[10:11]
	s_cbranch_execnz .LBB9_369
	s_branch .LBB9_370
.LBB9_591:
	s_mov_b64 s[2:3], -1
                                        ; implicit-def: $vgpr3_vgpr4
	s_mov_b64 s[0:1], 0
.LBB9_592:
	s_and_b64 vcc, exec, s[8:9]
	s_cbranch_vccz .LBB9_596
; %bb.593:
	s_cmp_eq_u32 s12, 44
	s_cbranch_scc0 .LBB9_595
; %bb.594:
	global_load_ubyte v5, v[0:1], off
	s_movk_i32 s2, 0xff
	v_bfrev_b32_e32 v6, 4
	v_mov_b32_e32 v7, 0x7ff80000
	v_bfrev_b32_e32 v8, 28
	s_mov_b64 s[0:1], -1
	s_waitcnt vmcnt(0)
	v_lshlrev_b32_e32 v3, 23, v5
	v_cvt_f64_f32_e32 v[3:4], v3
	v_cmp_ne_u32_e32 vcc, s2, v5
	s_mov_b64 s[2:3], 0
	v_cndmask_b32_e32 v3, v6, v3, vcc
	v_cndmask_b32_e32 v4, v7, v4, vcc
	v_cmp_ne_u32_e32 vcc, 0, v5
	v_cndmask_b32_e32 v4, v8, v4, vcc
	v_cndmask_b32_e32 v3, 0, v3, vcc
	s_branch .LBB9_596
.LBB9_595:
	s_mov_b64 s[2:3], -1
                                        ; implicit-def: $vgpr3_vgpr4
.LBB9_596:
	s_mov_b64 s[8:9], 0
.LBB9_597:
	s_and_b64 vcc, exec, s[8:9]
	s_cbranch_vccz .LBB9_601
; %bb.598:
	s_cmp_eq_u32 s12, 29
	s_cbranch_scc0 .LBB9_600
; %bb.599:
	global_load_dwordx2 v[3:4], v[0:1], off
	s_mov_b64 s[0:1], -1
	s_mov_b64 s[2:3], 0
	s_mov_b64 s[8:9], 0
	s_waitcnt vmcnt(0)
	v_cvt_f64_u32_e32 v[4:5], v4
	v_cvt_f64_u32_e32 v[6:7], v3
	v_ldexp_f64 v[4:5], v[4:5], 32
	v_add_f64 v[3:4], v[4:5], v[6:7]
	s_branch .LBB9_602
.LBB9_600:
	s_mov_b64 s[2:3], -1
                                        ; implicit-def: $vgpr3_vgpr4
.LBB9_601:
	s_mov_b64 s[8:9], 0
.LBB9_602:
	s_and_b64 vcc, exec, s[8:9]
	s_cbranch_vccz .LBB9_622
; %bb.603:
	s_cmp_lt_i32 s12, 27
	s_cbranch_scc1 .LBB9_606
; %bb.604:
	s_cmp_gt_i32 s12, 27
	s_cbranch_scc0 .LBB9_607
; %bb.605:
	global_load_dword v3, v[0:1], off
	s_mov_b64 s[0:1], 0
	s_waitcnt vmcnt(0)
	v_cvt_f64_u32_e32 v[3:4], v3
	s_branch .LBB9_608
.LBB9_606:
	s_mov_b64 s[0:1], -1
                                        ; implicit-def: $vgpr3_vgpr4
	s_branch .LBB9_611
.LBB9_607:
	s_mov_b64 s[0:1], -1
                                        ; implicit-def: $vgpr3_vgpr4
.LBB9_608:
	s_andn2_b64 vcc, exec, s[0:1]
	s_cbranch_vccnz .LBB9_610
; %bb.609:
	global_load_ushort v3, v[0:1], off
	s_waitcnt vmcnt(0)
	v_cvt_f64_u32_e32 v[3:4], v3
.LBB9_610:
	s_mov_b64 s[0:1], 0
.LBB9_611:
	s_andn2_b64 vcc, exec, s[0:1]
	s_cbranch_vccnz .LBB9_621
; %bb.612:
	global_load_ubyte v5, v[0:1], off
	s_movk_i32 s0, 0x7f
	s_waitcnt vmcnt(0)
	v_cmp_lt_i16_e32 vcc, s0, v5
	s_mov_b64 s[0:1], 0
	s_and_saveexec_b64 s[8:9], vcc
	s_xor_b64 s[8:9], exec, s[8:9]
	s_cbranch_execz .LBB9_616
; %bb.613:
	s_movk_i32 s0, 0x80
	v_cmp_eq_u16_e32 vcc, s0, v5
	s_mov_b64 s[0:1], -1
	s_and_saveexec_b64 s[10:11], vcc
; %bb.614:
	s_xor_b64 s[0:1], exec, -1
; %bb.615:
	s_or_b64 exec, exec, s[10:11]
	s_and_b64 s[0:1], s[0:1], exec
.LBB9_616:
	s_or_saveexec_b64 s[8:9], s[8:9]
	v_bfrev_b32_e32 v3, 4
	v_mov_b32_e32 v4, 0x7ff80000
	s_xor_b64 exec, exec, s[8:9]
; %bb.617:
	v_cmp_ne_u16_e32 vcc, 0, v5
	v_mov_b32_e32 v3, 0
	s_andn2_b64 s[0:1], s[0:1], exec
	s_and_b64 s[10:11], vcc, exec
	v_mov_b32_e32 v4, 0
	s_or_b64 s[0:1], s[0:1], s[10:11]
; %bb.618:
	s_or_b64 exec, exec, s[8:9]
	s_and_saveexec_b64 s[8:9], s[0:1]
	s_cbranch_execz .LBB9_620
; %bb.619:
	v_and_b32_e32 v4, 0xffff, v5
	v_lshlrev_b32_e32 v3, 24, v5
	v_and_b32_e32 v5, 7, v4
	v_ffbh_u32_e32 v7, v5
	v_min_u32_e32 v7, 32, v7
	v_subrev_u32_e32 v8, 28, v7
	v_bfe_u32 v6, v4, 3, 4
	v_lshlrev_b32_e32 v4, v8, v4
	v_sub_u32_e32 v7, 29, v7
	v_and_b32_e32 v4, 7, v4
	v_cmp_eq_u32_e32 vcc, 0, v6
	v_cndmask_b32_e32 v6, v6, v7, vcc
	v_cndmask_b32_e32 v4, v5, v4, vcc
	v_mov_b32_e32 v5, 0x3b800000
	v_lshlrev_b32_e32 v4, 20, v4
	v_and_b32_e32 v3, 0x80000000, v3
	v_lshl_add_u32 v5, v6, 23, v5
	v_or3_b32 v3, v3, v5, v4
	v_cvt_f64_f32_e32 v[3:4], v3
.LBB9_620:
	s_or_b64 exec, exec, s[8:9]
.LBB9_621:
	s_mov_b64 s[0:1], -1
.LBB9_622:
	s_mov_b64 s[8:9], 0
.LBB9_623:
	s_and_b64 vcc, exec, s[8:9]
	s_cbranch_vccz .LBB9_656
; %bb.624:
	s_cmp_gt_i32 s12, 22
	s_cbranch_scc0 .LBB9_636
; %bb.625:
	s_cmp_lt_i32 s12, 24
	s_cbranch_scc1 .LBB9_637
; %bb.626:
	s_cmp_gt_i32 s12, 24
	s_cbranch_scc0 .LBB9_638
; %bb.627:
	global_load_ubyte v5, v[0:1], off
	s_movk_i32 s0, 0x7f
	s_waitcnt vmcnt(0)
	v_cmp_lt_i16_e32 vcc, s0, v5
	s_mov_b64 s[0:1], 0
	s_and_saveexec_b64 s[8:9], vcc
	s_xor_b64 s[8:9], exec, s[8:9]
	s_cbranch_execz .LBB9_631
; %bb.628:
	s_movk_i32 s0, 0x80
	v_cmp_eq_u16_e32 vcc, s0, v5
	s_mov_b64 s[0:1], -1
	s_and_saveexec_b64 s[10:11], vcc
; %bb.629:
	s_xor_b64 s[0:1], exec, -1
; %bb.630:
	s_or_b64 exec, exec, s[10:11]
	s_and_b64 s[0:1], s[0:1], exec
.LBB9_631:
	s_or_saveexec_b64 s[8:9], s[8:9]
	v_bfrev_b32_e32 v3, 4
	v_mov_b32_e32 v4, 0x7ff80000
	s_xor_b64 exec, exec, s[8:9]
; %bb.632:
	v_cmp_ne_u16_e32 vcc, 0, v5
	v_mov_b32_e32 v3, 0
	s_andn2_b64 s[0:1], s[0:1], exec
	s_and_b64 s[10:11], vcc, exec
	v_mov_b32_e32 v4, 0
	s_or_b64 s[0:1], s[0:1], s[10:11]
; %bb.633:
	s_or_b64 exec, exec, s[8:9]
	s_and_saveexec_b64 s[8:9], s[0:1]
	s_cbranch_execz .LBB9_635
; %bb.634:
	v_and_b32_e32 v4, 0xffff, v5
	v_lshlrev_b32_e32 v3, 24, v5
	v_and_b32_e32 v5, 3, v4
	v_ffbh_u32_e32 v7, v5
	v_min_u32_e32 v7, 32, v7
	v_subrev_u32_e32 v8, 29, v7
	v_bfe_u32 v6, v4, 2, 5
	v_lshlrev_b32_e32 v4, v8, v4
	v_sub_u32_e32 v7, 30, v7
	v_and_b32_e32 v4, 3, v4
	v_cmp_eq_u32_e32 vcc, 0, v6
	v_cndmask_b32_e32 v6, v6, v7, vcc
	v_cndmask_b32_e32 v4, v5, v4, vcc
	v_mov_b32_e32 v5, 0x37800000
	v_lshlrev_b32_e32 v4, 21, v4
	v_and_b32_e32 v3, 0x80000000, v3
	v_lshl_add_u32 v5, v6, 23, v5
	v_or3_b32 v3, v3, v5, v4
	v_cvt_f64_f32_e32 v[3:4], v3
.LBB9_635:
	s_or_b64 exec, exec, s[8:9]
	s_mov_b64 s[0:1], 0
	s_branch .LBB9_639
.LBB9_636:
	s_mov_b64 s[8:9], -1
                                        ; implicit-def: $vgpr3_vgpr4
	s_branch .LBB9_645
.LBB9_637:
	s_mov_b64 s[0:1], -1
                                        ; implicit-def: $vgpr3_vgpr4
	s_branch .LBB9_642
.LBB9_638:
	s_mov_b64 s[0:1], -1
                                        ; implicit-def: $vgpr3_vgpr4
.LBB9_639:
	s_and_b64 vcc, exec, s[0:1]
	s_cbranch_vccz .LBB9_641
; %bb.640:
	global_load_ubyte v3, v[0:1], off
	s_mov_b32 s0, 0x7f800000
	s_waitcnt vmcnt(0)
	v_lshlrev_b32_e32 v3, 24, v3
	v_and_b32_e32 v4, 0x7f000000, v3
	v_ffbh_u32_e32 v5, v4
	v_min_u32_e32 v5, 32, v5
	v_sub_u32_e64 v5, v5, 4 clamp
	v_lshlrev_b32_e32 v7, v5, v4
	v_lshlrev_b32_e32 v5, 23, v5
	v_lshrrev_b32_e32 v7, 4, v7
	v_add_u32_e32 v6, 0x1000000, v4
	v_sub_u32_e32 v5, v7, v5
	v_ashrrev_i32_e32 v6, 8, v6
	v_add_u32_e32 v5, 0x3c000000, v5
	v_and_or_b32 v5, v6, s0, v5
	v_cmp_ne_u32_e32 vcc, 0, v4
	v_cndmask_b32_e32 v4, 0, v5, vcc
	s_brev_b32 s0, 1
	v_and_or_b32 v3, v3, s0, v4
	v_cvt_f64_f32_e32 v[3:4], v3
.LBB9_641:
	s_mov_b64 s[0:1], 0
.LBB9_642:
	s_andn2_b64 vcc, exec, s[0:1]
	s_cbranch_vccnz .LBB9_644
; %bb.643:
	global_load_ubyte v3, v[0:1], off
	s_movk_i32 s0, 0x7f00
	s_brev_b32 s1, 16
	s_waitcnt vmcnt(0)
	v_lshlrev_b16_e32 v4, 8, v3
	v_lshlrev_b32_e32 v3, 25, v3
	v_lshrrev_b32_e32 v5, 4, v3
	v_and_or_b32 v6, v4, s0, 0.5
	v_or_b32_e32 v5, 0x70000000, v5
	v_add_f32_e32 v6, -0.5, v6
	v_mul_f32_e32 v5, 0x7800000, v5
	v_cmp_gt_u32_e32 vcc, s1, v3
	v_bfe_i32 v4, v4, 0, 16
	v_cndmask_b32_e32 v3, v5, v6, vcc
	s_brev_b32 s0, 1
	v_and_or_b32 v3, v4, s0, v3
	v_cvt_f64_f32_e32 v[3:4], v3
.LBB9_644:
	s_mov_b64 s[8:9], 0
	s_mov_b64 s[0:1], -1
.LBB9_645:
	s_andn2_b64 vcc, exec, s[8:9]
	s_cbranch_vccnz .LBB9_656
; %bb.646:
	s_cmp_gt_i32 s12, 14
	s_cbranch_scc0 .LBB9_649
; %bb.647:
	s_cmp_eq_u32 s12, 15
	s_cbranch_scc0 .LBB9_650
; %bb.648:
	global_load_ushort v3, v[0:1], off
	s_mov_b64 s[0:1], -1
	s_mov_b64 s[2:3], 0
	s_waitcnt vmcnt(0)
	v_lshlrev_b32_e32 v3, 16, v3
	v_cvt_f64_f32_e32 v[3:4], v3
	s_branch .LBB9_651
.LBB9_649:
	s_mov_b64 s[8:9], -1
                                        ; implicit-def: $vgpr3_vgpr4
	s_branch .LBB9_652
.LBB9_650:
	s_mov_b64 s[2:3], -1
                                        ; implicit-def: $vgpr3_vgpr4
.LBB9_651:
	s_mov_b64 s[8:9], 0
.LBB9_652:
	s_and_b64 vcc, exec, s[8:9]
	s_cbranch_vccz .LBB9_656
; %bb.653:
	s_cmp_eq_u32 s12, 11
	s_cbranch_scc0 .LBB9_655
; %bb.654:
	global_load_ubyte v4, v[0:1], off
	v_mov_b32_e32 v5, 0x3ff00000
	s_waitcnt vmcnt(1)
	v_mov_b32_e32 v3, 0
	s_mov_b64 s[0:1], -1
	s_mov_b64 s[2:3], 0
	s_waitcnt vmcnt(0)
	v_cmp_ne_u16_e32 vcc, 0, v4
	v_cndmask_b32_e32 v4, 0, v5, vcc
	s_branch .LBB9_656
.LBB9_655:
	s_mov_b64 s[2:3], -1
                                        ; implicit-def: $vgpr3_vgpr4
.LBB9_656:
	s_mov_b64 s[8:9], 0
.LBB9_657:
	s_and_b64 vcc, exec, s[8:9]
	s_cbranch_vccz .LBB9_706
; %bb.658:
	s_cmp_lt_i32 s12, 5
	s_cbranch_scc1 .LBB9_663
; %bb.659:
	s_cmp_lt_i32 s12, 8
	s_cbranch_scc1 .LBB9_664
	;; [unrolled: 3-line block ×3, first 2 shown]
; %bb.661:
	s_cmp_gt_i32 s12, 9
	s_cbranch_scc0 .LBB9_666
; %bb.662:
	global_load_dwordx2 v[3:4], v[0:1], off
	s_mov_b64 s[0:1], 0
	s_branch .LBB9_667
.LBB9_663:
	s_mov_b64 s[0:1], -1
                                        ; implicit-def: $vgpr3_vgpr4
	s_branch .LBB9_685
.LBB9_664:
	s_mov_b64 s[0:1], -1
                                        ; implicit-def: $vgpr3_vgpr4
	s_branch .LBB9_673
.LBB9_665:
	s_mov_b64 s[0:1], -1
                                        ; implicit-def: $vgpr3_vgpr4
	s_branch .LBB9_670
.LBB9_666:
	s_mov_b64 s[0:1], -1
                                        ; implicit-def: $vgpr3_vgpr4
.LBB9_667:
	s_andn2_b64 vcc, exec, s[0:1]
	s_cbranch_vccnz .LBB9_669
; %bb.668:
	global_load_dword v3, v[0:1], off
	s_waitcnt vmcnt(0)
	v_cvt_f64_f32_e32 v[3:4], v3
.LBB9_669:
	s_mov_b64 s[0:1], 0
.LBB9_670:
	s_andn2_b64 vcc, exec, s[0:1]
	s_cbranch_vccnz .LBB9_672
; %bb.671:
	global_load_dword v3, v[0:1], off
	s_waitcnt vmcnt(0)
	v_cvt_f32_f16_e32 v3, v3
	v_cvt_f64_f32_e32 v[3:4], v3
.LBB9_672:
	s_mov_b64 s[0:1], 0
.LBB9_673:
	s_andn2_b64 vcc, exec, s[0:1]
	s_cbranch_vccnz .LBB9_684
; %bb.674:
	s_cmp_lt_i32 s12, 6
	s_cbranch_scc1 .LBB9_677
; %bb.675:
	s_cmp_gt_i32 s12, 6
	s_cbranch_scc0 .LBB9_678
; %bb.676:
	global_load_dwordx2 v[3:4], v[0:1], off
	s_mov_b64 s[0:1], 0
	s_branch .LBB9_679
.LBB9_677:
	s_mov_b64 s[0:1], -1
                                        ; implicit-def: $vgpr3_vgpr4
	s_branch .LBB9_682
.LBB9_678:
	s_mov_b64 s[0:1], -1
                                        ; implicit-def: $vgpr3_vgpr4
.LBB9_679:
	s_andn2_b64 vcc, exec, s[0:1]
	s_cbranch_vccnz .LBB9_681
; %bb.680:
	global_load_dword v3, v[0:1], off
	s_waitcnt vmcnt(0)
	v_cvt_f64_f32_e32 v[3:4], v3
.LBB9_681:
	s_mov_b64 s[0:1], 0
.LBB9_682:
	s_andn2_b64 vcc, exec, s[0:1]
	s_cbranch_vccnz .LBB9_684
; %bb.683:
	global_load_ushort v3, v[0:1], off
	s_waitcnt vmcnt(0)
	v_cvt_f32_f16_e32 v3, v3
	v_cvt_f64_f32_e32 v[3:4], v3
.LBB9_684:
	s_mov_b64 s[0:1], 0
.LBB9_685:
	s_andn2_b64 vcc, exec, s[0:1]
	s_cbranch_vccnz .LBB9_705
; %bb.686:
	s_cmp_lt_i32 s12, 2
	s_cbranch_scc1 .LBB9_690
; %bb.687:
	s_cmp_lt_i32 s12, 3
	s_cbranch_scc1 .LBB9_691
; %bb.688:
	s_cmp_gt_i32 s12, 3
	s_cbranch_scc0 .LBB9_692
; %bb.689:
	global_load_dwordx2 v[3:4], v[0:1], off
	s_mov_b64 s[0:1], 0
	s_waitcnt vmcnt(0)
	v_cvt_f64_i32_e32 v[4:5], v4
	v_cvt_f64_u32_e32 v[6:7], v3
	v_ldexp_f64 v[4:5], v[4:5], 32
	v_add_f64 v[3:4], v[4:5], v[6:7]
	s_branch .LBB9_693
.LBB9_690:
	s_mov_b64 s[0:1], -1
                                        ; implicit-def: $vgpr3_vgpr4
	s_branch .LBB9_699
.LBB9_691:
	s_mov_b64 s[0:1], -1
                                        ; implicit-def: $vgpr3_vgpr4
	s_branch .LBB9_696
.LBB9_692:
	s_mov_b64 s[0:1], -1
                                        ; implicit-def: $vgpr3_vgpr4
.LBB9_693:
	s_andn2_b64 vcc, exec, s[0:1]
	s_cbranch_vccnz .LBB9_695
; %bb.694:
	global_load_dword v3, v[0:1], off
	s_waitcnt vmcnt(0)
	v_cvt_f64_i32_e32 v[3:4], v3
.LBB9_695:
	s_mov_b64 s[0:1], 0
.LBB9_696:
	s_andn2_b64 vcc, exec, s[0:1]
	s_cbranch_vccnz .LBB9_698
; %bb.697:
	global_load_sshort v3, v[0:1], off
	s_waitcnt vmcnt(0)
	v_cvt_f64_i32_e32 v[3:4], v3
.LBB9_698:
	s_mov_b64 s[0:1], 0
.LBB9_699:
	s_andn2_b64 vcc, exec, s[0:1]
	s_cbranch_vccnz .LBB9_705
; %bb.700:
	s_cmp_gt_i32 s12, 0
	s_cbranch_scc0 .LBB9_702
; %bb.701:
	global_load_sbyte v3, v[0:1], off
	s_mov_b64 s[0:1], 0
	s_waitcnt vmcnt(0)
	v_cvt_f64_i32_e32 v[3:4], v3
	s_branch .LBB9_703
.LBB9_702:
	s_mov_b64 s[0:1], -1
                                        ; implicit-def: $vgpr3_vgpr4
.LBB9_703:
	s_andn2_b64 vcc, exec, s[0:1]
	s_cbranch_vccnz .LBB9_705
; %bb.704:
	global_load_ubyte v0, v[0:1], off
	s_waitcnt vmcnt(0)
	v_cvt_f64_u32_e32 v[3:4], v0
.LBB9_705:
	s_mov_b64 s[0:1], -1
.LBB9_706:
	s_andn2_b64 vcc, exec, s[0:1]
	s_cbranch_vccnz .LBB9_722
; %bb.707:
	s_waitcnt vmcnt(0)
	v_cmp_neq_f64_e32 vcc, 0, v[3:4]
	v_mov_b32_e32 v0, 0
	v_mov_b32_e32 v1, 0x7ff00000
	s_and_saveexec_b64 s[8:9], vcc
	s_cbranch_execz .LBB9_715
; %bb.708:
	v_cmp_ngt_f64_e32 vcc, 0, v[3:4]
	v_mov_b32_e32 v0, 0
	v_mov_b32_e32 v1, 0x7ff80000
	s_and_saveexec_b64 s[10:11], vcc
	s_cbranch_execz .LBB9_714
; %bb.709:
	v_cmp_ge_f64_e32 vcc, 2.0, v[3:4]
                                        ; implicit-def: $vgpr0_vgpr1
	s_and_saveexec_b64 s[0:1], vcc
	s_xor_b64 s[12:13], exec, s[0:1]
	s_cbranch_execz .LBB9_711
; %bb.710:
	v_fma_f64 v[0:1], v[3:4], 0.5, -2.0
	v_mov_b32_e32 v5, 0x977da589
	v_mov_b32_e32 v6, 0x3c833362
	s_mov_b32 s1, 0xbc545cb7
	s_mov_b32 s0, 0x2134d0ef
	;; [unrolled: 1-line block ×5, first 2 shown]
	v_fma_f64 v[5:6], v[0:1], s[0:1], v[5:6]
	s_mov_b32 s1, 0x3c545cb7
	s_mov_b32 s79, 0x3fd99999
	;; [unrolled: 1-line block ×7, first 2 shown]
	v_fma_f64 v[7:8], v[0:1], v[5:6], s[0:1]
	s_mov_b32 s0, 0x721ebbb4
	s_mov_b32 s1, 0xbcb184eb
	;; [unrolled: 1-line block ×7, first 2 shown]
	v_add_f64 v[7:8], v[7:8], s[0:1]
	s_mov_b32 s0, 0x93f65eba
	s_mov_b32 s1, 0x3cdee6d8
	;; [unrolled: 1-line block ×7, first 2 shown]
	v_fma_f64 v[5:6], v[0:1], v[7:8], -v[5:6]
	s_mov_b32 s19, 0x3f54b82e
	s_mov_b32 s16, 0x554a9085
	;; [unrolled: 1-line block ×3, first 2 shown]
	v_add_f64 v[5:6], v[5:6], s[0:1]
	s_mov_b32 s0, 0xc297fbeb
	s_mov_b32 s1, 0xbd0a5022
	v_fma_f64 v[7:8], v[0:1], v[5:6], -v[7:8]
	v_add_f64 v[7:8], v[7:8], s[0:1]
	s_mov_b32 s0, 0x4b262627
	s_mov_b32 s1, 0x3d359b46
	v_fma_f64 v[5:6], v[0:1], v[7:8], -v[5:6]
	;; [unrolled: 4-line block ×4, first 2 shown]
	v_add_f64 v[9:10], v[5:6], s[0:1]
	v_mul_f64 v[5:6], v[3:4], 0.5
	s_mov_b32 s1, 0x3fe55555
	s_mov_b32 s0, 0x55555555
	v_fma_f64 v[7:8], v[0:1], v[9:10], -v[7:8]
	v_frexp_mant_f64_e32 v[12:13], v[5:6]
	v_frexp_exp_i32_f64_e32 v32, v[5:6]
	v_add_f64 v[7:8], v[7:8], s[14:15]
	v_cmp_gt_f64_e32 vcc, s[0:1], v[12:13]
	s_mov_b32 s14, 0xcc743c10
	s_mov_b32 s15, 0x3dda98be
	s_mov_b32 s0, 0x55555780
	v_fma_f64 v[9:10], v[0:1], v[7:8], -v[9:10]
	v_cndmask_b32_e64 v14, 0, 1, vcc
	v_ldexp_f64 v[12:13], v[12:13], v14
	v_subbrev_co_u32_e32 v32, vcc, 0, v32, vcc
	v_cvt_f64_i32_e32 v[32:33], v32
	v_add_f64 v[9:10], v[9:10], s[14:15]
	s_mov_b32 s14, 0x13ae9556
	v_add_f64 v[14:15], v[12:13], 1.0
	s_mov_b32 s15, 0xbe01d4fe
	v_add_f64 v[20:21], v[12:13], -1.0
	v_mul_f64 v[34:35], v[32:33], s[80:81]
	v_fma_f64 v[7:8], v[0:1], v[9:10], -v[7:8]
	v_rcp_f64_e32 v[16:17], v[14:15]
	v_add_f64 v[22:23], v[14:15], -1.0
	v_add_f64 v[7:8], v[7:8], s[14:15]
	s_mov_b32 s14, 0xa454cb34
	s_mov_b32 s15, 0x3e26d903
	v_add_f64 v[12:13], v[12:13], -v[22:23]
	v_fma_f64 v[9:10], v[0:1], v[7:8], -v[9:10]
	v_fma_f64 v[18:19], -v[14:15], v[16:17], 1.0
	v_fma_f64 v[16:17], v[18:19], v[16:17], v[16:17]
	v_add_f64 v[18:19], v[9:10], s[14:15]
	s_mov_b32 s14, 0x8c0b30ab
	s_mov_b32 s15, 0xbe4beaf6
	v_fma_f64 v[9:10], -v[14:15], v[16:17], 1.0
	v_fma_f64 v[7:8], v[0:1], v[18:19], -v[7:8]
	v_fma_f64 v[16:17], v[9:10], v[16:17], v[16:17]
	v_add_f64 v[7:8], v[7:8], s[14:15]
	s_mov_b32 s14, 0x9d4d6435
	s_mov_b32 s15, 0x3e703b76
	v_mul_f64 v[9:10], v[20:21], v[16:17]
	v_fma_f64 v[18:19], v[0:1], v[7:8], -v[18:19]
	v_mul_f64 v[24:25], v[14:15], v[9:10]
	v_add_f64 v[18:19], v[18:19], s[14:15]
	s_mov_b32 s14, 0x8f227f8d
	s_mov_b32 s15, 0xbe91ec63
	v_fma_f64 v[14:15], v[9:10], v[14:15], -v[24:25]
	v_fma_f64 v[7:8], v[0:1], v[18:19], -v[7:8]
	v_fma_f64 v[12:13], v[9:10], v[12:13], v[14:15]
	v_add_f64 v[7:8], v[7:8], s[14:15]
	s_mov_b32 s14, 0x978cf4ac
	s_mov_b32 s15, 0x3eb2bf24
	v_add_f64 v[14:15], v[24:25], v[12:13]
	v_fma_f64 v[18:19], v[0:1], v[7:8], -v[18:19]
	v_add_f64 v[22:23], v[20:21], -v[14:15]
	v_add_f64 v[18:19], v[18:19], s[14:15]
	v_add_f64 v[24:25], v[14:15], -v[24:25]
	s_mov_b32 s14, 0xcba56427
	s_mov_b32 s15, 0xbed2866f
	v_add_f64 v[20:21], v[20:21], -v[22:23]
	v_fma_f64 v[7:8], v[0:1], v[18:19], -v[7:8]
	v_add_f64 v[12:13], v[24:25], -v[12:13]
	v_mov_b32_e32 v24, 0x6b47b09a
	v_mov_b32_e32 v25, 0x3fc38538
	v_add_f64 v[14:15], v[20:21], -v[14:15]
	v_add_f64 v[7:8], v[7:8], s[14:15]
	s_mov_b32 s14, 0xbe9a2859
	s_mov_b32 s15, 0x3ef13f58
	v_add_f64 v[12:13], v[12:13], v[14:15]
	v_fma_f64 v[14:15], v[0:1], v[7:8], -v[18:19]
	v_mov_b32_e32 v18, 0xc384c2aa
	v_mov_b32_e32 v19, 0x3d27fb0a
	v_add_f64 v[12:13], v[22:23], v[12:13]
	v_add_f64 v[14:15], v[14:15], s[14:15]
	s_mov_b32 s14, 0x59c41d5a
	s_mov_b32 s15, 0xbf0e2b26
	v_mul_f64 v[12:13], v[16:17], v[12:13]
	v_fma_f64 v[16:17], v[0:1], v[14:15], -v[7:8]
	v_fma_f64 v[7:8], v[3:4], v[3:4], -2.0
	v_add_f64 v[20:21], v[9:10], v[12:13]
	v_add_f64 v[16:17], v[16:17], s[14:15]
	s_mov_b32 s14, 0xbf559e2b
	s_mov_b32 s15, 0x3fc3ab76
	v_fma_f64 v[18:19], v[7:8], s[68:69], v[18:19]
	s_mov_b32 s69, 0xbca3cee1
	v_mul_f64 v[22:23], v[20:21], v[20:21]
	v_fma_f64 v[14:15], v[0:1], v[16:17], -v[14:15]
	v_ldexp_f64 v[28:29], v[20:21], 1
	v_add_f64 v[9:10], v[20:21], -v[9:10]
	v_fma_f64 v[30:31], v[7:8], v[18:19], s[68:69]
	s_mov_b32 s68, 0xf121b6f0
	s_mov_b32 s69, 0xbf984e9e
	v_fma_f64 v[24:25], v[22:23], s[14:15], v[24:25]
	s_mov_b32 s14, 0x74107cab
	s_mov_b32 s15, 0x3f28b51b
	v_add_f64 v[14:15], v[14:15], s[14:15]
	s_mov_b32 s14, 0xd7f4df2e
	s_mov_b32 s15, 0x3fc7474d
	v_mul_f64 v[26:27], v[20:21], v[22:23]
	v_add_f64 v[30:31], v[30:31], s[70:71]
	v_fma_f64 v[24:25], v[22:23], v[24:25], s[14:15]
	s_mov_b32 s14, 0x16291751
	s_mov_b32 s15, 0x3fcc71c0
	v_fma_f64 v[16:17], v[0:1], v[14:15], -v[16:17]
	v_add_f64 v[12:13], v[12:13], -v[9:10]
	v_fma_f64 v[18:19], v[7:8], v[30:31], -v[18:19]
	v_fma_f64 v[24:25], v[22:23], v[24:25], s[14:15]
	s_mov_b32 s14, 0x1f15eb52
	s_mov_b32 s15, 0xbf42e2fd
	v_add_f64 v[16:17], v[16:17], s[14:15]
	s_mov_b32 s14, 0x9b27acf1
	s_mov_b32 s15, 0x3fd24924
	v_ldexp_f64 v[12:13], v[12:13], 1
	v_add_f64 v[18:19], v[18:19], s[66:67]
	v_fma_f64 v[24:25], v[22:23], v[24:25], s[14:15]
	s_mov_b32 s66, 0x623fde64
	s_mov_b32 s67, 0x3ec71dee
	v_fma_f64 v[14:15], v[0:1], v[16:17], -v[14:15]
	s_mov_b32 s14, 0x81213db9
	s_mov_b32 s15, 0x3fd608d8
	v_fma_f64 v[30:31], v[7:8], v[18:19], -v[30:31]
	v_fma_f64 v[24:25], v[22:23], v[24:25], s[78:79]
	s_mov_b32 s78, 0x8a12100e
	s_mov_b32 s79, 0x3f5adc75
	v_add_f64 v[14:15], v[14:15], s[78:79]
	s_mov_b32 s78, 0x652b82fe
	s_mov_b32 s79, 0x3ff71547
	v_add_f64 v[30:31], v[30:31], s[22:23]
	v_fma_f64 v[22:23], v[22:23], v[24:25], s[0:1]
	s_mov_b32 s0, 0x201aa849
	s_mov_b32 s1, 0xbf71b65e
	v_fma_f64 v[16:17], v[0:1], v[14:15], -v[16:17]
	v_mov_b32_e32 v24, 0xfca7ab0c
	v_mov_b32_e32 v25, 0x3e928af3
	s_mov_b32 s22, 0x14761f6e
	v_fma_f64 v[18:19], v[7:8], v[30:31], -v[18:19]
	v_mul_f64 v[22:23], v[26:27], v[22:23]
	v_mul_f64 v[26:27], v[3:4], s[78:79]
	s_mov_b32 s23, 0x3f2a01a0
	v_add_f64 v[16:17], v[16:17], s[0:1]
	s_mov_b32 s0, 0xf3dde3dd
	s_mov_b32 s1, 0x3f859961
	v_add_f64 v[18:19], v[18:19], s[20:21]
	v_add_f64 v[20:21], v[28:29], v[22:23]
	v_rndne_f64_e32 v[9:10], v[26:27]
	v_fma_f64 v[26:27], v[32:33], s[80:81], -v[34:35]
	v_fma_f64 v[14:15], v[0:1], v[16:17], -v[14:15]
	s_mov_b32 s81, 0xbfe62e42
	s_mov_b32 s20, 0x77ac88c0
	;; [unrolled: 1-line block ×3, first 2 shown]
	v_add_f64 v[28:29], v[20:21], -v[28:29]
	v_fma_f64 v[3:4], v[9:10], s[80:81], v[3:4]
	v_fma_f64 v[26:27], v[32:33], s[82:83], v[26:27]
	v_add_f64 v[14:15], v[14:15], s[0:1]
	s_mov_b32 s83, 0xbc7abc9e
	s_mov_b32 s0, 0x6a5dcb37
	;; [unrolled: 1-line block ×3, first 2 shown]
	v_add_f64 v[22:23], v[22:23], -v[28:29]
	v_fma_f64 v[3:4], v[9:10], s[82:83], v[3:4]
	v_fma_f64 v[16:17], v[0:1], v[14:15], -v[16:17]
	v_add_f64 v[12:13], v[12:13], v[22:23]
	v_add_f64 v[22:23], v[34:35], v[26:27]
	v_fma_f64 v[24:25], v[3:4], s[0:1], v[24:25]
	v_add_f64 v[16:17], v[16:17], s[68:69]
	s_mov_b32 s68, 0xcea8a32d
	s_mov_b32 s69, 0x3fa93e8a
	;; [unrolled: 1-line block ×4, first 2 shown]
	v_add_f64 v[28:29], v[20:21], v[12:13]
	v_add_f64 v[34:35], v[22:23], -v[34:35]
	v_fma_f64 v[24:25], v[3:4], v[24:25], s[66:67]
	v_fma_f64 v[14:15], v[0:1], v[16:17], -v[14:15]
	s_mov_b32 s66, 0x1852b7b0
	s_mov_b32 s67, 0x3f56c16c
	v_add_f64 v[32:33], v[22:23], v[28:29]
	v_add_f64 v[20:21], v[28:29], -v[20:21]
	v_fma_f64 v[24:25], v[3:4], v[24:25], s[0:1]
	v_add_f64 v[14:15], v[14:15], s[68:69]
	s_mov_b32 s0, 0x342d06ea
	s_mov_b32 s1, 0xbfb84b70
	v_add_f64 v[26:27], v[26:27], -v[34:35]
	v_add_f64 v[36:37], v[32:33], -v[22:23]
	;; [unrolled: 1-line block ×3, first 2 shown]
	v_fma_f64 v[24:25], v[3:4], v[24:25], s[22:23]
	v_fma_f64 v[16:17], v[0:1], v[14:15], -v[16:17]
	v_add_f64 v[38:39], v[32:33], -v[36:37]
	v_add_f64 v[20:21], v[28:29], -v[36:37]
	v_fma_f64 v[28:29], v[7:8], v[18:19], -v[30:31]
	v_add_f64 v[16:17], v[16:17], s[0:1]
	v_fma_f64 v[24:25], v[3:4], v[24:25], s[66:67]
	s_mov_b32 s0, 0x11122322
	s_mov_b32 s1, 0x3f811111
	v_add_f64 v[30:31], v[26:27], v[12:13]
	v_add_f64 v[22:23], v[22:23], -v[38:39]
	v_fma_f64 v[14:15], v[0:1], v[16:17], -v[14:15]
	v_fma_f64 v[24:25], v[3:4], v[24:25], s[0:1]
	s_mov_b32 s0, 0x555502a1
	s_mov_b32 s1, 0x3fa55555
	v_add_f64 v[20:21], v[20:21], v[22:23]
	v_add_f64 v[22:23], v[28:29], s[18:19]
	s_mov_b32 s18, 0x55555511
	v_add_f64 v[14:15], v[14:15], s[20:21]
	v_fma_f64 v[24:25], v[3:4], v[24:25], s[0:1]
	v_add_f64 v[28:29], v[30:31], -v[26:27]
	s_mov_b32 s0, 0xc057cd8d
	s_mov_b32 s19, 0x3fc55555
	v_add_f64 v[20:21], v[30:31], v[20:21]
	v_fma_f64 v[18:19], v[7:8], v[22:23], -v[18:19]
	s_mov_b32 s1, 0xbfd37feb
	v_fma_f64 v[16:17], v[0:1], v[14:15], -v[16:17]
	v_fma_f64 v[24:25], v[3:4], v[24:25], s[18:19]
	v_add_f64 v[30:31], v[30:31], -v[28:29]
	v_add_f64 v[12:13], v[12:13], -v[28:29]
	v_add_f64 v[34:35], v[32:33], v[20:21]
	v_add_f64 v[18:19], v[18:19], s[16:17]
	v_add_f64 v[16:17], v[16:17], s[0:1]
	s_mov_b32 s0, 11
	s_mov_b32 s1, 0x3fe00000
	v_fma_f64 v[24:25], v[3:4], v[24:25], s[0:1]
	v_add_f64 v[26:27], v[26:27], -v[30:31]
	v_add_f64 v[28:29], v[34:35], -v[32:33]
	v_fma_f64 v[22:23], v[7:8], v[18:19], -v[22:23]
	s_mov_b32 s0, 0x9035a22a
	v_fma_f64 v[0:1], v[0:1], v[16:17], -v[14:15]
	s_mov_b32 s1, 0x3fe5a84e
	v_add_f64 v[12:13], v[12:13], v[26:27]
	v_add_f64 v[16:17], v[20:21], -v[28:29]
	v_add_f64 v[20:21], v[22:23], s[14:15]
	v_fma_f64 v[22:23], v[3:4], v[24:25], 1.0
	v_add_f64 v[0:1], v[0:1], s[0:1]
	s_mov_b32 s0, 0xe9d2f61f
	s_mov_b32 s1, 0xbfe12166
	v_add_f64 v[12:13], v[12:13], v[16:17]
	v_fma_f64 v[7:8], v[7:8], v[20:21], -v[18:19]
	v_fma_f64 v[3:4], v[3:4], v[22:23], 1.0
	v_add_f64 v[0:1], v[0:1], -v[14:15]
	v_cvt_i32_f64_e32 v14, v[9:10]
	v_add_f64 v[9:10], v[34:35], v[12:13]
	v_add_f64 v[7:8], v[7:8], s[0:1]
	v_ldexp_f64 v[3:4], v[3:4], v14
	v_mul_f64 v[0:1], v[0:1], 0.5
	s_mov_b32 s0, 0
	s_mov_b32 s1, 0x7ff00000
	v_cmp_neq_f64_e32 vcc, s[0:1], v[5:6]
	v_cmp_neq_f64_e64 s[0:1], 0, v[5:6]
	v_mov_b32_e32 v12, 0x7ff00000
	v_add_f64 v[5:6], v[7:8], -v[18:19]
	v_mul_f64 v[0:1], v[3:4], v[0:1]
	v_cndmask_b32_e32 v10, v12, v10, vcc
	v_mov_b32_e32 v12, 0xfff00000
	s_and_b64 vcc, s[0:1], vcc
	v_cndmask_b32_e64 v8, v12, v10, s[0:1]
	v_cndmask_b32_e32 v7, 0, v9, vcc
	v_mul_f64 v[0:1], v[7:8], v[0:1]
	v_fma_f64 v[0:1], v[5:6], 0.5, -v[0:1]
	v_mul_f64 v[0:1], v[3:4], v[0:1]
                                        ; implicit-def: $vgpr3_vgpr4
.LBB9_711:
	s_andn2_saveexec_b64 s[0:1], s[12:13]
	s_cbranch_execz .LBB9_713
; %bb.712:
	s_mov_b32 s12, 0
	s_mov_b32 s13, 0x40200000
	v_div_scale_f64 v[0:1], s[14:15], v[3:4], v[3:4], s[12:13]
	v_rcp_f64_e32 v[5:6], v[0:1]
	v_fma_f64 v[7:8], -v[0:1], v[5:6], 1.0
	v_fma_f64 v[5:6], v[5:6], v[7:8], v[5:6]
	v_div_scale_f64 v[7:8], vcc, s[12:13], v[3:4], s[12:13]
	v_fma_f64 v[9:10], -v[0:1], v[5:6], 1.0
	v_fma_f64 v[5:6], v[5:6], v[9:10], v[5:6]
	v_mul_f64 v[9:10], v[7:8], v[5:6]
	v_fma_f64 v[0:1], -v[0:1], v[9:10], v[7:8]
	v_div_fmas_f64 v[0:1], v[0:1], v[5:6], v[9:10]
	v_mov_b32_e32 v5, 0x93812603
	v_mov_b32_e32 v6, 0xbc72fecc
	v_mov_b32_e32 v9, 0x100
	v_div_fixup_f64 v[0:1], v[0:1], v[3:4], s[12:13]
	s_mov_b32 s13, 0x3c5871a5
	s_mov_b32 s12, 0xcf8c9ee1
	v_add_f64 v[0:1], v[0:1], -2.0
	v_fma_f64 v[5:6], v[0:1], s[12:13], v[5:6]
	s_mov_b32 s13, 0xbc5871a5
	v_fma_f64 v[7:8], v[0:1], v[5:6], s[12:13]
	s_mov_b32 s12, 0x41a8cdf4
	s_mov_b32 s13, 0x3c8e092e
	v_add_f64 v[7:8], v[7:8], s[12:13]
	s_mov_b32 s12, 0x74d77641
	s_mov_b32 s13, 0xbca82f94
	v_fma_f64 v[5:6], v[0:1], v[7:8], -v[5:6]
	v_add_f64 v[5:6], v[5:6], s[12:13]
	s_mov_b32 s12, 0x6b94785b
	s_mov_b32 s13, 0x3cc3dbf9
	v_fma_f64 v[7:8], v[0:1], v[5:6], -v[7:8]
	;; [unrolled: 4-line block ×17, first 2 shown]
	v_add_f64 v[5:6], v[5:6], s[12:13]
	s_mov_b32 s12, 0
	s_brev_b32 s13, 8
	v_cmp_gt_f64_e32 vcc, s[12:13], v[3:4]
	s_mov_b32 s12, 0xcc7470a9
	s_mov_b32 s13, 0x3eed413f
	v_fma_f64 v[7:8], v[0:1], v[5:6], -v[7:8]
	v_cndmask_b32_e32 v9, 0, v9, vcc
	v_ldexp_f64 v[3:4], v[3:4], v9
	v_add_f64 v[7:8], v[7:8], s[12:13]
	s_mov_b32 s12, 0xe7889f42
	s_mov_b32 s13, 0xbf20d797
	v_rsq_f64_e32 v[9:10], v[3:4]
	v_fma_f64 v[5:6], v[0:1], v[7:8], -v[5:6]
	v_add_f64 v[5:6], v[5:6], s[12:13]
	s_mov_b32 s12, 0xfca79342
	s_mov_b32 s13, 0x3f59b891
	v_mul_f64 v[12:13], v[3:4], v[9:10]
	v_mul_f64 v[9:10], v[9:10], 0.5
	v_fma_f64 v[7:8], v[0:1], v[5:6], -v[7:8]
	v_fma_f64 v[14:15], -v[9:10], v[12:13], 0.5
	v_add_f64 v[7:8], v[7:8], s[12:13]
	s_mov_b32 s12, 0x2d4ff71e
	s_mov_b32 s13, 0xbfa019f7
	v_fma_f64 v[12:13], v[12:13], v[14:15], v[12:13]
	v_fma_f64 v[9:10], v[9:10], v[14:15], v[9:10]
	v_fma_f64 v[5:6], v[0:1], v[7:8], -v[5:6]
	v_fma_f64 v[14:15], -v[12:13], v[12:13], v[3:4]
	v_add_f64 v[5:6], v[5:6], s[12:13]
	s_mov_b32 s12, 0x9f4e6907
	s_mov_b32 s13, 0x400385bd
	v_fma_f64 v[12:13], v[14:15], v[9:10], v[12:13]
	v_fma_f64 v[0:1], v[0:1], v[5:6], -v[7:8]
	v_fma_f64 v[5:6], -v[12:13], v[12:13], v[3:4]
	v_add_f64 v[0:1], v[0:1], s[12:13]
	v_fma_f64 v[5:6], v[5:6], v[9:10], v[12:13]
	v_add_f64 v[0:1], v[0:1], -v[7:8]
	v_mov_b32_e32 v7, 0xffffff80
	v_mov_b32_e32 v8, 0x260
	v_cndmask_b32_e32 v7, 0, v7, vcc
	v_cmp_class_f64_e32 vcc, v[3:4], v8
	v_ldexp_f64 v[5:6], v[5:6], v7
	v_mul_f64 v[0:1], v[0:1], 0.5
	v_cndmask_b32_e32 v4, v6, v4, vcc
	v_cndmask_b32_e32 v3, v5, v3, vcc
	v_div_scale_f64 v[5:6], s[12:13], v[3:4], v[3:4], v[0:1]
	v_div_scale_f64 v[12:13], vcc, v[0:1], v[3:4], v[0:1]
	v_rcp_f64_e32 v[7:8], v[5:6]
	v_fma_f64 v[9:10], -v[5:6], v[7:8], 1.0
	v_fma_f64 v[7:8], v[7:8], v[9:10], v[7:8]
	v_fma_f64 v[9:10], -v[5:6], v[7:8], 1.0
	v_fma_f64 v[7:8], v[7:8], v[9:10], v[7:8]
	v_mul_f64 v[9:10], v[12:13], v[7:8]
	v_fma_f64 v[5:6], -v[5:6], v[9:10], v[12:13]
	v_div_fmas_f64 v[5:6], v[5:6], v[7:8], v[9:10]
	v_div_fixup_f64 v[0:1], v[5:6], v[3:4], v[0:1]
.LBB9_713:
	s_or_b64 exec, exec, s[0:1]
.LBB9_714:
	s_or_b64 exec, exec, s[10:11]
.LBB9_715:
	s_or_b64 exec, exec, s[8:9]
	v_mov_b32_e32 v3, s25
	s_and_b32 s14, s73, 0xff
	v_add_co_u32_e32 v4, vcc, s24, v2
	s_cmp_lt_i32 s14, 11
	v_addc_co_u32_e32 v5, vcc, 0, v3, vcc
	s_cbranch_scc1 .LBB9_723
; %bb.716:
	s_and_b32 s15, 0xffff, s14
	s_cmp_gt_i32 s15, 25
	s_cbranch_scc0 .LBB9_724
; %bb.717:
	s_cmp_gt_i32 s15, 28
	s_cbranch_scc0 .LBB9_725
; %bb.718:
	;; [unrolled: 3-line block ×4, first 2 shown]
	s_mov_b64 s[10:11], 0
	s_mov_b64 s[0:1], -1
	s_cmp_eq_u32 s15, 46
	s_mov_b64 s[8:9], 0
	s_cbranch_scc0 .LBB9_728
; %bb.721:
	v_cvt_f32_f64_e32 v2, v[0:1]
	s_movk_i32 s0, 0x7fff
	v_mov_b32_e32 v3, 0x7fc0
	s_mov_b64 s[8:9], -1
	v_bfe_u32 v6, v2, 16, 1
	v_cmp_o_f32_e32 vcc, v2, v2
	v_add3_u32 v2, v2, v6, s0
	v_cndmask_b32_sdwa v2, v3, v2, vcc dst_sel:DWORD dst_unused:UNUSED_PAD src0_sel:DWORD src1_sel:WORD_1
	global_store_dword v[4:5], v2, off
	s_mov_b64 s[0:1], 0
	s_branch .LBB9_728
.LBB9_722:
	s_mov_b64 s[8:9], 0
	s_mov_b64 s[0:1], s[60:61]
	s_branch .LBB9_839
.LBB9_723:
	s_mov_b64 s[10:11], -1
	s_mov_b64 s[8:9], 0
	s_mov_b64 s[0:1], s[60:61]
	s_branch .LBB9_797
.LBB9_724:
	s_mov_b64 s[10:11], -1
	s_mov_b64 s[8:9], 0
	s_mov_b64 s[0:1], s[60:61]
	s_branch .LBB9_755
.LBB9_725:
	s_mov_b64 s[10:11], -1
	s_mov_b64 s[8:9], 0
	s_mov_b64 s[0:1], s[60:61]
	s_branch .LBB9_738
.LBB9_726:
	s_mov_b64 s[10:11], -1
	s_mov_b64 s[8:9], 0
	s_mov_b64 s[0:1], s[60:61]
	s_branch .LBB9_734
.LBB9_727:
	s_mov_b64 s[10:11], -1
	s_mov_b64 s[8:9], 0
	s_mov_b64 s[0:1], s[60:61]
.LBB9_728:
	s_and_b64 vcc, exec, s[10:11]
	s_cbranch_vccz .LBB9_733
; %bb.729:
	s_cmp_eq_u32 s15, 44
	s_mov_b64 s[0:1], -1
	s_cbranch_scc0 .LBB9_733
; %bb.730:
	v_cvt_f32_f64_e32 v2, v[0:1]
	s_movk_i32 s0, 0xff
	v_mov_b32_e32 v6, 0xff
	v_bfe_u32 v3, v2, 23, 8
	v_cmp_ne_u32_e32 vcc, s0, v3
	s_and_saveexec_b64 s[8:9], vcc
; %bb.731:
	s_mov_b32 s0, 0x3fffff
	v_lshrrev_b32_e32 v6, 23, v2
	v_and_b32_e32 v7, 0x400000, v2
	v_and_or_b32 v2, v2, s0, v3
	v_cmp_ne_u32_e32 vcc, 0, v7
	v_cmp_ne_u32_e64 s[0:1], 0, v2
	s_and_b64 s[0:1], vcc, s[0:1]
	v_cndmask_b32_e64 v2, 0, 1, s[0:1]
	v_add_u32_e32 v6, v6, v2
; %bb.732:
	s_or_b64 exec, exec, s[8:9]
	s_mov_b64 s[8:9], -1
	s_mov_b64 s[0:1], 0
	global_store_byte v[4:5], v6, off
.LBB9_733:
	s_mov_b64 s[10:11], 0
.LBB9_734:
	s_and_b64 vcc, exec, s[10:11]
	s_cbranch_vccz .LBB9_737
; %bb.735:
	s_cmp_eq_u32 s15, 29
	s_mov_b64 s[0:1], -1
	s_cbranch_scc0 .LBB9_737
; %bb.736:
	v_trunc_f64_e32 v[2:3], v[0:1]
	s_movk_i32 s0, 0xffe0
	s_mov_b64 s[8:9], -1
	s_mov_b64 s[10:11], 0
	v_ldexp_f64 v[6:7], v[2:3], s0
	s_mov_b32 s0, 0
	s_mov_b32 s1, 0xc1f00000
	v_floor_f64_e32 v[6:7], v[6:7]
	v_fma_f64 v[2:3], v[6:7], s[0:1], v[2:3]
	v_cvt_u32_f64_e32 v7, v[6:7]
	s_mov_b64 s[0:1], 0
	v_cvt_u32_f64_e32 v6, v[2:3]
	global_store_dwordx2 v[4:5], v[6:7], off
	s_branch .LBB9_738
.LBB9_737:
	s_mov_b64 s[10:11], 0
.LBB9_738:
	s_and_b64 vcc, exec, s[10:11]
	s_cbranch_vccz .LBB9_754
; %bb.739:
	s_cmp_lt_i32 s15, 27
	s_mov_b64 s[8:9], -1
	s_cbranch_scc1 .LBB9_745
; %bb.740:
	v_cvt_u32_f64_e32 v2, v[0:1]
	s_cmp_gt_i32 s15, 27
	s_cbranch_scc0 .LBB9_742
; %bb.741:
	s_mov_b64 s[8:9], 0
	global_store_dword v[4:5], v2, off
.LBB9_742:
	s_andn2_b64 vcc, exec, s[8:9]
	s_cbranch_vccnz .LBB9_744
; %bb.743:
	global_store_short v[4:5], v2, off
.LBB9_744:
	s_mov_b64 s[8:9], 0
.LBB9_745:
	s_andn2_b64 vcc, exec, s[8:9]
	s_cbranch_vccnz .LBB9_753
; %bb.746:
	v_cvt_f32_f64_e32 v2, v[0:1]
	s_mov_b32 s8, 0x43800000
	v_mov_b32_e32 v6, 0x80
	v_and_b32_e32 v3, 0x7fffffff, v2
	v_cmp_gt_u32_e32 vcc, s8, v3
	s_and_saveexec_b64 s[8:9], vcc
	s_cbranch_execz .LBB9_752
; %bb.747:
	s_mov_b32 s10, 0x3bffffff
	v_cmp_lt_u32_e32 vcc, s10, v3
	s_mov_b64 s[10:11], 0
                                        ; implicit-def: $vgpr3
	s_and_saveexec_b64 s[12:13], vcc
	s_xor_b64 s[12:13], exec, s[12:13]
	s_cbranch_execz .LBB9_869
; %bb.748:
	v_bfe_u32 v3, v2, 20, 1
	s_mov_b32 s16, 0x487ffff
	v_add3_u32 v3, v2, v3, s16
	s_mov_b64 s[10:11], exec
	v_lshrrev_b32_e32 v3, 20, v3
	s_andn2_saveexec_b64 s[12:13], s[12:13]
	s_cbranch_execnz .LBB9_870
.LBB9_749:
	s_or_b64 exec, exec, s[12:13]
	v_mov_b32_e32 v6, 0
	s_and_saveexec_b64 s[12:13], s[10:11]
.LBB9_750:
	v_lshrrev_b32_e32 v2, 24, v2
	s_movk_i32 s10, 0x80
	v_and_or_b32 v6, v2, s10, v3
.LBB9_751:
	s_or_b64 exec, exec, s[12:13]
.LBB9_752:
	s_or_b64 exec, exec, s[8:9]
	global_store_byte v[4:5], v6, off
.LBB9_753:
	s_mov_b64 s[8:9], -1
.LBB9_754:
	s_mov_b64 s[10:11], 0
.LBB9_755:
	s_and_b64 vcc, exec, s[10:11]
	s_cbranch_vccz .LBB9_796
; %bb.756:
	s_cmp_gt_i32 s15, 22
	s_mov_b64 s[10:11], -1
	s_cbranch_scc0 .LBB9_788
; %bb.757:
	s_cmp_lt_i32 s15, 24
	s_mov_b64 s[8:9], -1
	s_cbranch_scc1 .LBB9_777
; %bb.758:
	s_cmp_gt_i32 s15, 24
	s_cbranch_scc0 .LBB9_766
; %bb.759:
	v_cvt_f32_f64_e32 v2, v[0:1]
	s_mov_b32 s8, 0x47800000
	v_mov_b32_e32 v6, 0x80
	v_and_b32_e32 v3, 0x7fffffff, v2
	v_cmp_gt_u32_e32 vcc, s8, v3
	s_and_saveexec_b64 s[8:9], vcc
	s_cbranch_execz .LBB9_765
; %bb.760:
	s_mov_b32 s10, 0x37ffffff
	v_cmp_lt_u32_e32 vcc, s10, v3
	s_mov_b64 s[10:11], 0
                                        ; implicit-def: $vgpr3
	s_and_saveexec_b64 s[12:13], vcc
	s_xor_b64 s[12:13], exec, s[12:13]
	s_cbranch_execz .LBB9_872
; %bb.761:
	v_bfe_u32 v3, v2, 21, 1
	s_mov_b32 s16, 0x88fffff
	v_add3_u32 v3, v2, v3, s16
	s_mov_b64 s[10:11], exec
	v_lshrrev_b32_e32 v3, 21, v3
	s_andn2_saveexec_b64 s[12:13], s[12:13]
	s_cbranch_execnz .LBB9_873
.LBB9_762:
	s_or_b64 exec, exec, s[12:13]
	v_mov_b32_e32 v6, 0
	s_and_saveexec_b64 s[12:13], s[10:11]
.LBB9_763:
	v_lshrrev_b32_e32 v2, 24, v2
	s_movk_i32 s10, 0x80
	v_and_or_b32 v6, v2, s10, v3
.LBB9_764:
	s_or_b64 exec, exec, s[12:13]
.LBB9_765:
	s_or_b64 exec, exec, s[8:9]
	s_mov_b64 s[8:9], 0
	global_store_byte v[4:5], v6, off
.LBB9_766:
	s_and_b64 vcc, exec, s[8:9]
	s_cbranch_vccz .LBB9_776
; %bb.767:
	v_cvt_f32_f64_e32 v2, v[0:1]
	s_mov_b32 s8, 0x43f00000
                                        ; implicit-def: $vgpr3
	v_and_b32_e32 v6, 0x7fffffff, v2
	v_cmp_gt_u32_e32 vcc, s8, v6
	s_and_saveexec_b64 s[8:9], vcc
	s_xor_b64 s[8:9], exec, s[8:9]
	s_cbranch_execz .LBB9_773
; %bb.768:
	s_mov_b32 s10, 0x3c7fffff
	v_cmp_lt_u32_e32 vcc, s10, v6
                                        ; implicit-def: $vgpr3
	s_and_saveexec_b64 s[10:11], vcc
	s_xor_b64 s[10:11], exec, s[10:11]
; %bb.769:
	v_bfe_u32 v3, v2, 20, 1
	s_mov_b32 s12, 0x407ffff
	v_add3_u32 v3, v2, v3, s12
	v_lshrrev_b32_e32 v6, 20, v3
	v_and_b32_e32 v3, 0xff00000, v3
	s_mov_b32 s12, 0x7f00000
	v_mov_b32_e32 v7, 0x7e
	v_cmp_ne_u32_e32 vcc, s12, v3
	v_cndmask_b32_e32 v3, v7, v6, vcc
; %bb.770:
	s_andn2_saveexec_b64 s[10:11], s[10:11]
; %bb.771:
	s_mov_b32 s12, 0x46800000
	v_add_f32_e64 v3, |v2|, s12
; %bb.772:
	s_or_b64 exec, exec, s[10:11]
                                        ; implicit-def: $vgpr6
.LBB9_773:
	s_andn2_saveexec_b64 s[8:9], s[8:9]
; %bb.774:
	s_mov_b32 s10, 0x7f800000
	v_mov_b32_e32 v3, 0x7e
	v_mov_b32_e32 v7, 0x7f
	v_cmp_lt_u32_e32 vcc, s10, v6
	v_cndmask_b32_e32 v3, v3, v7, vcc
; %bb.775:
	s_or_b64 exec, exec, s[8:9]
	v_lshrrev_b32_e32 v2, 24, v2
	s_movk_i32 s8, 0x80
	v_and_or_b32 v2, v2, s8, v3
	global_store_byte v[4:5], v2, off
.LBB9_776:
	s_mov_b64 s[8:9], 0
.LBB9_777:
	s_andn2_b64 vcc, exec, s[8:9]
	s_cbranch_vccnz .LBB9_787
; %bb.778:
	v_cvt_f32_f64_e32 v2, v[0:1]
	s_mov_b32 s8, 0x47800000
                                        ; implicit-def: $vgpr3
	v_and_b32_e32 v6, 0x7fffffff, v2
	v_cmp_gt_u32_e32 vcc, s8, v6
	s_and_saveexec_b64 s[8:9], vcc
	s_xor_b64 s[8:9], exec, s[8:9]
	s_cbranch_execz .LBB9_784
; %bb.779:
	s_mov_b32 s10, 0x387fffff
	v_cmp_lt_u32_e32 vcc, s10, v6
                                        ; implicit-def: $vgpr3
	s_and_saveexec_b64 s[10:11], vcc
	s_xor_b64 s[10:11], exec, s[10:11]
; %bb.780:
	v_bfe_u32 v3, v2, 21, 1
	s_mov_b32 s12, 0x80fffff
	v_add3_u32 v3, v2, v3, s12
	v_lshrrev_b32_e32 v3, 21, v3
; %bb.781:
	s_andn2_saveexec_b64 s[10:11], s[10:11]
; %bb.782:
	s_mov_b32 s12, 0x43000000
	v_add_f32_e64 v3, |v2|, s12
; %bb.783:
	s_or_b64 exec, exec, s[10:11]
                                        ; implicit-def: $vgpr6
.LBB9_784:
	s_andn2_saveexec_b64 s[8:9], s[8:9]
; %bb.785:
	s_mov_b32 s10, 0x7f800000
	v_mov_b32_e32 v3, 0x7c
	v_mov_b32_e32 v7, 0x7f
	v_cmp_lt_u32_e32 vcc, s10, v6
	v_cndmask_b32_e32 v3, v3, v7, vcc
; %bb.786:
	s_or_b64 exec, exec, s[8:9]
	v_lshrrev_b32_e32 v2, 24, v2
	s_movk_i32 s8, 0x80
	v_and_or_b32 v2, v2, s8, v3
	global_store_byte v[4:5], v2, off
.LBB9_787:
	s_mov_b64 s[10:11], 0
	s_mov_b64 s[8:9], -1
.LBB9_788:
	s_andn2_b64 vcc, exec, s[10:11]
	s_cbranch_vccnz .LBB9_796
; %bb.789:
	s_cmp_gt_i32 s15, 14
	s_mov_b64 s[10:11], -1
	s_cbranch_scc0 .LBB9_793
; %bb.790:
	s_cmp_eq_u32 s15, 15
	s_mov_b64 s[0:1], -1
	s_cbranch_scc0 .LBB9_792
; %bb.791:
	v_cvt_f32_f64_e32 v2, v[0:1]
	s_movk_i32 s0, 0x7fff
	v_mov_b32_e32 v3, 0x7fc0
	s_mov_b64 s[8:9], -1
	v_bfe_u32 v6, v2, 16, 1
	v_cmp_o_f32_e32 vcc, v2, v2
	v_add3_u32 v2, v2, v6, s0
	v_cndmask_b32_sdwa v2, v3, v2, vcc dst_sel:DWORD dst_unused:UNUSED_PAD src0_sel:DWORD src1_sel:WORD_1
	global_store_short v[4:5], v2, off
	s_mov_b64 s[0:1], 0
.LBB9_792:
	s_mov_b64 s[10:11], 0
.LBB9_793:
	s_and_b64 vcc, exec, s[10:11]
	s_cbranch_vccz .LBB9_796
; %bb.794:
	s_cmp_eq_u32 s15, 11
	s_mov_b64 s[0:1], -1
	s_cbranch_scc0 .LBB9_796
; %bb.795:
	v_cmp_neq_f64_e32 vcc, 0, v[0:1]
	s_mov_b64 s[0:1], 0
	s_mov_b64 s[8:9], -1
	v_cndmask_b32_e64 v2, 0, 1, vcc
	global_store_byte v[4:5], v2, off
.LBB9_796:
	s_mov_b64 s[10:11], 0
.LBB9_797:
	s_and_b64 vcc, exec, s[10:11]
	s_cbranch_vccz .LBB9_836
; %bb.798:
	s_and_b32 s10, 0xffff, s14
	s_cmp_lt_i32 s10, 5
	s_mov_b64 s[8:9], -1
	s_cbranch_scc1 .LBB9_819
; %bb.799:
	s_cmp_lt_i32 s10, 8
	s_cbranch_scc1 .LBB9_809
; %bb.800:
	s_cmp_lt_i32 s10, 9
	s_cbranch_scc1 .LBB9_806
; %bb.801:
	s_cmp_gt_i32 s10, 9
	s_cbranch_scc0 .LBB9_803
; %bb.802:
	v_mov_b32_e32 v2, 0
	v_mov_b32_e32 v3, v2
	s_mov_b64 s[8:9], 0
	global_store_dwordx4 v[4:5], v[0:3], off
.LBB9_803:
	s_andn2_b64 vcc, exec, s[8:9]
	s_cbranch_vccnz .LBB9_805
; %bb.804:
	v_cvt_f32_f64_e32 v2, v[0:1]
	v_mov_b32_e32 v3, 0
	global_store_dwordx2 v[4:5], v[2:3], off
.LBB9_805:
	s_mov_b64 s[8:9], 0
.LBB9_806:
	s_andn2_b64 vcc, exec, s[8:9]
	s_cbranch_vccnz .LBB9_808
; %bb.807:
	s_movk_i32 s8, 0x1ff
	v_and_or_b32 v2, v1, s8, v0
	v_cmp_ne_u32_e32 vcc, 0, v2
	v_cndmask_b32_e64 v2, 0, 1, vcc
	v_lshrrev_b32_e32 v3, 8, v1
	s_movk_i32 s8, 0xffe
	v_bfe_u32 v6, v1, 20, 11
	v_and_or_b32 v2, v3, s8, v2
	v_sub_u32_e32 v7, 0x3f1, v6
	v_or_b32_e32 v3, 0x1000, v2
	v_med3_i32 v7, v7, 0, 13
	v_lshrrev_b32_e32 v8, v7, v3
	v_lshlrev_b32_e32 v7, v7, v8
	v_cmp_ne_u32_e32 vcc, v7, v3
	v_cndmask_b32_e64 v3, 0, 1, vcc
	v_add_u32_e32 v6, 0xfffffc10, v6
	v_or_b32_e32 v3, v8, v3
	v_lshl_or_b32 v7, v6, 12, v2
	v_cmp_gt_i32_e32 vcc, 1, v6
	v_cndmask_b32_e32 v3, v7, v3, vcc
	v_and_b32_e32 v7, 7, v3
	v_cmp_lt_i32_e32 vcc, 5, v7
	v_cndmask_b32_e64 v8, 0, 1, vcc
	v_cmp_eq_u32_e32 vcc, 3, v7
	v_cndmask_b32_e64 v7, 0, 1, vcc
	v_or_b32_e32 v7, v7, v8
	v_lshrrev_b32_e32 v3, 2, v3
	v_add_u32_e32 v3, v3, v7
	v_mov_b32_e32 v7, 0x7c00
	v_cmp_gt_i32_e32 vcc, 31, v6
	v_cndmask_b32_e32 v3, v7, v3, vcc
	v_mov_b32_e32 v8, 0x7e00
	v_cmp_ne_u32_e32 vcc, 0, v2
	s_movk_i32 s8, 0x40f
	v_cndmask_b32_e32 v2, v7, v8, vcc
	v_cmp_eq_u32_e32 vcc, s8, v6
	v_cndmask_b32_e32 v2, v3, v2, vcc
	v_lshrrev_b32_e32 v3, 16, v1
	s_mov_b32 s8, 0x8000
	v_and_or_b32 v2, v3, s8, v2
	v_and_b32_e32 v2, 0xffff, v2
	global_store_dword v[4:5], v2, off
.LBB9_808:
	s_mov_b64 s[8:9], 0
.LBB9_809:
	s_andn2_b64 vcc, exec, s[8:9]
	s_cbranch_vccnz .LBB9_818
; %bb.810:
	s_cmp_lt_i32 s10, 6
	s_mov_b64 s[8:9], -1
	s_cbranch_scc1 .LBB9_816
; %bb.811:
	s_cmp_gt_i32 s10, 6
	s_cbranch_scc0 .LBB9_813
; %bb.812:
	s_mov_b64 s[8:9], 0
	global_store_dwordx2 v[4:5], v[0:1], off
.LBB9_813:
	s_andn2_b64 vcc, exec, s[8:9]
	s_cbranch_vccnz .LBB9_815
; %bb.814:
	v_cvt_f32_f64_e32 v2, v[0:1]
	global_store_dword v[4:5], v2, off
.LBB9_815:
	s_mov_b64 s[8:9], 0
.LBB9_816:
	s_andn2_b64 vcc, exec, s[8:9]
	s_cbranch_vccnz .LBB9_818
; %bb.817:
	s_movk_i32 s8, 0x1ff
	v_and_or_b32 v2, v1, s8, v0
	v_cmp_ne_u32_e32 vcc, 0, v2
	v_cndmask_b32_e64 v2, 0, 1, vcc
	v_lshrrev_b32_e32 v3, 8, v1
	s_movk_i32 s8, 0xffe
	v_bfe_u32 v6, v1, 20, 11
	v_and_or_b32 v2, v3, s8, v2
	v_sub_u32_e32 v7, 0x3f1, v6
	v_or_b32_e32 v3, 0x1000, v2
	v_med3_i32 v7, v7, 0, 13
	v_lshrrev_b32_e32 v8, v7, v3
	v_lshlrev_b32_e32 v7, v7, v8
	v_cmp_ne_u32_e32 vcc, v7, v3
	v_cndmask_b32_e64 v3, 0, 1, vcc
	v_add_u32_e32 v6, 0xfffffc10, v6
	v_or_b32_e32 v3, v8, v3
	v_lshl_or_b32 v7, v6, 12, v2
	v_cmp_gt_i32_e32 vcc, 1, v6
	v_cndmask_b32_e32 v3, v7, v3, vcc
	v_and_b32_e32 v7, 7, v3
	v_cmp_lt_i32_e32 vcc, 5, v7
	v_cndmask_b32_e64 v8, 0, 1, vcc
	v_cmp_eq_u32_e32 vcc, 3, v7
	v_cndmask_b32_e64 v7, 0, 1, vcc
	v_or_b32_e32 v7, v7, v8
	v_lshrrev_b32_e32 v3, 2, v3
	v_add_u32_e32 v3, v3, v7
	v_mov_b32_e32 v7, 0x7c00
	v_cmp_gt_i32_e32 vcc, 31, v6
	v_cndmask_b32_e32 v3, v7, v3, vcc
	v_mov_b32_e32 v8, 0x7e00
	v_cmp_ne_u32_e32 vcc, 0, v2
	s_movk_i32 s8, 0x40f
	v_cndmask_b32_e32 v2, v7, v8, vcc
	v_cmp_eq_u32_e32 vcc, s8, v6
	v_cndmask_b32_e32 v2, v3, v2, vcc
	v_lshrrev_b32_e32 v3, 16, v1
	s_mov_b32 s8, 0x8000
	v_and_or_b32 v2, v3, s8, v2
	global_store_short v[4:5], v2, off
.LBB9_818:
	s_mov_b64 s[8:9], 0
.LBB9_819:
	s_andn2_b64 vcc, exec, s[8:9]
	s_cbranch_vccnz .LBB9_835
; %bb.820:
	s_cmp_lt_i32 s10, 2
	s_mov_b64 s[8:9], -1
	s_cbranch_scc1 .LBB9_830
; %bb.821:
	s_cmp_lt_i32 s10, 3
	s_cbranch_scc1 .LBB9_827
; %bb.822:
	s_cmp_gt_i32 s10, 3
	s_cbranch_scc0 .LBB9_824
; %bb.823:
	v_trunc_f64_e32 v[2:3], v[0:1]
	s_movk_i32 s8, 0xffe0
	v_ldexp_f64 v[6:7], v[2:3], s8
	s_mov_b32 s8, 0
	s_mov_b32 s9, 0xc1f00000
	v_floor_f64_e32 v[6:7], v[6:7]
	v_fma_f64 v[2:3], v[6:7], s[8:9], v[2:3]
	v_cvt_i32_f64_e32 v7, v[6:7]
	s_mov_b64 s[8:9], 0
	v_cvt_u32_f64_e32 v6, v[2:3]
	global_store_dwordx2 v[4:5], v[6:7], off
.LBB9_824:
	s_andn2_b64 vcc, exec, s[8:9]
	s_cbranch_vccnz .LBB9_826
; %bb.825:
	v_cvt_i32_f64_e32 v2, v[0:1]
	global_store_dword v[4:5], v2, off
.LBB9_826:
	s_mov_b64 s[8:9], 0
.LBB9_827:
	s_andn2_b64 vcc, exec, s[8:9]
	s_cbranch_vccnz .LBB9_829
; %bb.828:
	v_cvt_i32_f64_e32 v2, v[0:1]
	global_store_short v[4:5], v2, off
.LBB9_829:
	s_mov_b64 s[8:9], 0
.LBB9_830:
	s_andn2_b64 vcc, exec, s[8:9]
	s_cbranch_vccnz .LBB9_835
; %bb.831:
	s_cmp_gt_i32 s10, 0
	s_mov_b64 s[8:9], -1
	s_cbranch_scc0 .LBB9_833
; %bb.832:
	v_cvt_i32_f64_e32 v2, v[0:1]
	s_mov_b64 s[8:9], 0
	global_store_byte v[4:5], v2, off
.LBB9_833:
	s_andn2_b64 vcc, exec, s[8:9]
	s_cbranch_vccnz .LBB9_835
; %bb.834:
	v_trunc_f64_e32 v[0:1], v[0:1]
	s_movk_i32 s8, 0xffe0
	v_ldexp_f64 v[2:3], v[0:1], s8
	s_mov_b32 s8, 0
	s_mov_b32 s9, 0xc1f00000
	v_floor_f64_e32 v[2:3], v[2:3]
	v_fma_f64 v[0:1], v[2:3], s[8:9], v[0:1]
	v_cvt_u32_f64_e32 v0, v[0:1]
	global_store_byte v[4:5], v0, off
.LBB9_835:
	s_mov_b64 s[8:9], -1
.LBB9_836:
	s_andn2_b64 vcc, exec, s[8:9]
	s_cbranch_vccnz .LBB9_838
; %bb.837:
	v_add_u32_e32 v11, 0x80, v11
	s_mov_b64 s[8:9], -1
	s_branch .LBB9_840
.LBB9_838:
	s_mov_b64 s[8:9], 0
.LBB9_839:
                                        ; implicit-def: $vgpr11
.LBB9_840:
	s_andn2_b64 s[10:11], s[60:61], exec
	s_and_b64 s[0:1], s[0:1], exec
	s_or_b64 s[68:69], s[10:11], s[0:1]
	s_andn2_b64 s[0:1], s[58:59], exec
	s_and_b64 s[2:3], s[2:3], exec
	s_or_b64 s[66:67], s[0:1], s[2:3]
	s_orn2_b64 s[2:3], s[8:9], exec
.LBB9_841:
	s_or_b64 exec, exec, s[64:65]
	s_mov_b64 s[0:1], 0
	s_mov_b64 s[8:9], 0
	;; [unrolled: 1-line block ×3, first 2 shown]
                                        ; implicit-def: $vgpr0_vgpr1
                                        ; implicit-def: $vgpr2
                                        ; implicit-def: $vgpr3_vgpr4
	s_and_saveexec_b64 s[64:65], s[2:3]
	s_cbranch_execz .LBB9_940
; %bb.842:
	v_cmp_gt_i32_e32 vcc, s75, v11
	s_mov_b64 s[2:3], 0
	s_mov_b64 s[12:13], s[66:67]
                                        ; implicit-def: $vgpr0_vgpr1
                                        ; implicit-def: $vgpr2
                                        ; implicit-def: $vgpr3_vgpr4
	s_and_saveexec_b64 s[70:71], vcc
	s_cbranch_execz .LBB9_939
; %bb.843:
	s_andn2_b64 vcc, exec, s[42:43]
	s_cbranch_vccnz .LBB9_848
; %bb.844:
	s_andn2_b64 vcc, exec, s[50:51]
	s_cbranch_vccnz .LBB9_849
; %bb.845:
	s_add_i32 s76, s76, 1
	s_cmp_eq_u32 s72, 2
	s_cbranch_scc1 .LBB9_850
; %bb.846:
	s_and_b32 s75, s76, 28
	v_mov_b32_e32 v0, 0
	s_mov_b32 s77, 0
	s_mov_b64 s[50:51], s[34:35]
	v_mov_b32_e32 v2, 0
	v_mov_b32_e32 v1, v11
.LBB9_847:                              ; =>This Inner Loop Header: Depth=1
	s_load_dwordx8 s[16:23], s[50:51], 0x4
	s_load_dwordx4 s[0:3], s[50:51], 0x24
	s_load_dwordx8 s[8:15], s[48:49], 0x0
	s_add_u32 s50, s50, 48
	s_addc_u32 s51, s51, 0
	s_waitcnt vmcnt(0) lgkmcnt(0)
	v_mul_hi_u32 v3, s17, v1
	s_add_i32 s77, s77, 4
	s_add_u32 s48, s48, 32
	s_addc_u32 s49, s49, 0
	v_add_u32_e32 v3, v1, v3
	v_lshrrev_b32_e32 v3, s18, v3
	v_mul_lo_u32 v4, v3, s16
	v_mul_hi_u32 v5, s20, v3
	s_cmp_eq_u32 s75, s77
	v_sub_u32_e32 v1, v1, v4
	v_add_u32_e32 v4, v3, v5
	v_mul_lo_u32 v5, v1, s8
	v_mul_lo_u32 v6, v1, s9
	v_lshrrev_b32_e32 v1, s21, v4
	v_mul_lo_u32 v4, v1, s19
	v_mul_hi_u32 v7, s23, v1
	v_sub_u32_e32 v3, v3, v4
	v_add_u32_e32 v4, v1, v7
	v_lshrrev_b32_e32 v4, s0, v4
	v_mul_hi_u32 v8, s2, v4
	v_mul_lo_u32 v9, v4, s22
	v_mul_lo_u32 v7, v3, s10
	;; [unrolled: 1-line block ×3, first 2 shown]
	v_sub_u32_e32 v9, v1, v9
	v_add_u32_e32 v1, v4, v8
	v_lshrrev_b32_e32 v1, s3, v1
	v_mul_lo_u32 v8, v1, s1
	v_mul_lo_u32 v10, v9, s12
	;; [unrolled: 1-line block ×3, first 2 shown]
	v_add3_u32 v2, v5, v2, v7
	v_sub_u32_e32 v4, v4, v8
	v_mul_lo_u32 v8, v4, s14
	v_mul_lo_u32 v4, v4, s15
	v_add3_u32 v0, v6, v0, v3
	v_add3_u32 v2, v10, v2, v8
	;; [unrolled: 1-line block ×3, first 2 shown]
	s_cbranch_scc0 .LBB9_847
	s_branch .LBB9_851
.LBB9_848:
	s_mov_b64 s[0:1], -1
                                        ; implicit-def: $vgpr2
                                        ; implicit-def: $vgpr0
	s_branch .LBB9_855
.LBB9_849:
	v_mov_b32_e32 v2, 0
	v_mov_b32_e32 v0, 0
	s_branch .LBB9_854
.LBB9_850:
	s_mov_b32 s75, 0
	v_mov_b32_e32 v2, 0
	v_mov_b32_e32 v0, 0
	;; [unrolled: 1-line block ×3, first 2 shown]
.LBB9_851:
	s_and_b32 s8, s76, 3
	s_cmp_eq_u32 s8, 0
	s_cbranch_scc1 .LBB9_854
; %bb.852:
	s_lshl_b32 s0, s75, 3
	s_add_u32 s0, s34, s0
	s_addc_u32 s1, s35, 0
	s_add_u32 s0, s0, 0xc4
	s_addc_u32 s1, s1, 0
	s_mul_i32 s2, s75, 12
	s_add_u32 s2, s34, s2
	s_addc_u32 s3, s35, 0
.LBB9_853:                              ; =>This Inner Loop Header: Depth=1
	s_load_dwordx2 s[10:11], s[2:3], 0x4
	s_load_dword s9, s[2:3], 0xc
	s_load_dwordx2 s[12:13], s[0:1], 0x0
	s_add_u32 s2, s2, 12
	s_addc_u32 s3, s3, 0
	s_waitcnt vmcnt(0) lgkmcnt(0)
	v_mul_hi_u32 v3, s11, v1
	s_add_u32 s0, s0, 8
	s_addc_u32 s1, s1, 0
	s_add_i32 s8, s8, -1
	v_add_u32_e32 v3, v1, v3
	v_lshrrev_b32_e32 v4, s9, v3
	v_mul_lo_u32 v3, v4, s10
	s_cmp_lg_u32 s8, 0
	v_sub_u32_e32 v1, v1, v3
	v_mad_u64_u32 v[2:3], s[10:11], v1, s12, v[2:3]
	v_mad_u64_u32 v[0:1], s[10:11], v1, s13, v[0:1]
	v_mov_b32_e32 v1, v4
	s_cbranch_scc1 .LBB9_853
.LBB9_854:
	s_mov_b64 s[0:1], 0
.LBB9_855:
	s_andn2_b64 vcc, exec, s[0:1]
	s_cbranch_vccnz .LBB9_858
; %bb.856:
	s_waitcnt lgkmcnt(0)
	v_mul_hi_u32 v0, s37, v11
	s_andn2_b64 vcc, exec, s[46:47]
	v_add_u32_e32 v0, v11, v0
	v_lshrrev_b32_e32 v1, s38, v0
	v_mul_lo_u32 v0, v1, s36
	v_sub_u32_e32 v0, v11, v0
	v_mul_lo_u32 v2, v0, s28
	v_mul_lo_u32 v0, v0, s29
	s_cbranch_vccnz .LBB9_858
; %bb.857:
	s_waitcnt vmcnt(0)
	v_mul_hi_u32 v3, s6, v1
	v_add_u32_e32 v3, v1, v3
	v_lshrrev_b32_e32 v3, s7, v3
	v_mul_lo_u32 v3, v3, s39
	v_sub_u32_e32 v1, v1, v3
	v_mad_u64_u32 v[2:3], s[0:1], v1, s30, v[2:3]
	v_mad_u64_u32 v[0:1], s[0:1], v1, s31, v[0:1]
.LBB9_858:
	s_waitcnt lgkmcnt(0)
	v_mov_b32_e32 v1, s27
	s_and_b32 s12, 0xffff, s74
	v_add_co_u32_e32 v0, vcc, s26, v0
	s_cmp_lt_i32 s12, 11
	v_addc_co_u32_e32 v1, vcc, 0, v1, vcc
	s_cbranch_scc1 .LBB9_865
; %bb.859:
	s_cmp_gt_i32 s12, 25
	s_mov_b64 s[2:3], 0
	s_cbranch_scc0 .LBB9_866
; %bb.860:
	s_cmp_gt_i32 s12, 28
	s_cbranch_scc0 .LBB9_867
; %bb.861:
	s_cmp_gt_i32 s12, 43
	;; [unrolled: 3-line block ×3, first 2 shown]
	s_cbranch_scc0 .LBB9_871
; %bb.863:
	s_cmp_eq_u32 s12, 46
	s_mov_b64 s[8:9], 0
	s_cbranch_scc0 .LBB9_874
; %bb.864:
	global_load_dword v3, v[0:1], off
	s_mov_b64 s[0:1], 0
	s_mov_b64 s[6:7], -1
	s_waitcnt vmcnt(0)
	v_lshlrev_b32_e32 v3, 16, v3
	v_cvt_f64_f32_e32 v[3:4], v3
	s_branch .LBB9_875
.LBB9_865:
	s_mov_b64 s[8:9], -1
	s_mov_b64 s[6:7], 0
	s_mov_b64 s[2:3], 0
	s_mov_b64 s[0:1], s[66:67]
                                        ; implicit-def: $vgpr3_vgpr4
	s_branch .LBB9_938
.LBB9_866:
	s_mov_b64 s[8:9], -1
	s_mov_b64 s[6:7], 0
	s_mov_b64 s[0:1], s[66:67]
                                        ; implicit-def: $vgpr3_vgpr4
	s_branch .LBB9_906
.LBB9_867:
	s_mov_b64 s[8:9], -1
	s_mov_b64 s[6:7], 0
	s_mov_b64 s[0:1], s[66:67]
                                        ; implicit-def: $vgpr3_vgpr4
	s_branch .LBB9_885
.LBB9_868:
	s_mov_b64 s[8:9], -1
	s_mov_b64 s[6:7], 0
	s_mov_b64 s[0:1], s[66:67]
                                        ; implicit-def: $vgpr3_vgpr4
	s_branch .LBB9_880
.LBB9_869:
	s_andn2_saveexec_b64 s[12:13], s[12:13]
	s_cbranch_execz .LBB9_749
.LBB9_870:
	s_mov_b32 s16, 0x46000000
	v_add_f32_e64 v3, |v2|, s16
	v_and_b32_e32 v3, 0xff, v3
	v_cmp_ne_u32_e32 vcc, 0, v3
	s_andn2_b64 s[10:11], s[10:11], exec
	s_and_b64 s[16:17], vcc, exec
	s_or_b64 s[10:11], s[10:11], s[16:17]
	s_or_b64 exec, exec, s[12:13]
	v_mov_b32_e32 v6, 0
	s_and_saveexec_b64 s[12:13], s[10:11]
	s_cbranch_execnz .LBB9_750
	s_branch .LBB9_751
.LBB9_871:
	s_mov_b64 s[8:9], -1
	s_mov_b64 s[6:7], 0
	s_mov_b64 s[0:1], s[66:67]
                                        ; implicit-def: $vgpr3_vgpr4
	s_branch .LBB9_875
.LBB9_872:
	s_andn2_saveexec_b64 s[12:13], s[12:13]
	s_cbranch_execz .LBB9_762
.LBB9_873:
	s_mov_b32 s16, 0x42800000
	v_add_f32_e64 v3, |v2|, s16
	v_and_b32_e32 v3, 0xff, v3
	v_cmp_ne_u32_e32 vcc, 0, v3
	s_andn2_b64 s[10:11], s[10:11], exec
	s_and_b64 s[16:17], vcc, exec
	s_or_b64 s[10:11], s[10:11], s[16:17]
	s_or_b64 exec, exec, s[12:13]
	v_mov_b32_e32 v6, 0
	s_and_saveexec_b64 s[12:13], s[10:11]
	s_cbranch_execnz .LBB9_763
	s_branch .LBB9_764
.LBB9_874:
	s_mov_b64 s[0:1], -1
                                        ; implicit-def: $vgpr3_vgpr4
	s_mov_b64 s[6:7], 0
.LBB9_875:
	s_and_b64 vcc, exec, s[8:9]
	s_cbranch_vccz .LBB9_879
; %bb.876:
	s_cmp_eq_u32 s12, 44
	s_cbranch_scc0 .LBB9_878
; %bb.877:
	global_load_ubyte v5, v[0:1], off
	s_movk_i32 s6, 0xff
	v_bfrev_b32_e32 v6, 4
	v_mov_b32_e32 v7, 0x7ff80000
	v_bfrev_b32_e32 v8, 28
	s_mov_b64 s[0:1], 0
	s_waitcnt vmcnt(0)
	v_lshlrev_b32_e32 v3, 23, v5
	v_cvt_f64_f32_e32 v[3:4], v3
	v_cmp_ne_u32_e32 vcc, s6, v5
	s_mov_b64 s[6:7], -1
	v_cndmask_b32_e32 v3, v6, v3, vcc
	v_cndmask_b32_e32 v4, v7, v4, vcc
	v_cmp_ne_u32_e32 vcc, 0, v5
	v_cndmask_b32_e32 v4, v8, v4, vcc
	v_cndmask_b32_e32 v3, 0, v3, vcc
	s_branch .LBB9_879
.LBB9_878:
	s_mov_b64 s[0:1], -1
                                        ; implicit-def: $vgpr3_vgpr4
.LBB9_879:
	s_mov_b64 s[8:9], 0
.LBB9_880:
	s_and_b64 vcc, exec, s[8:9]
	s_cbranch_vccz .LBB9_884
; %bb.881:
	s_cmp_eq_u32 s12, 29
	s_cbranch_scc0 .LBB9_883
; %bb.882:
	global_load_dwordx2 v[3:4], v[0:1], off
	s_mov_b64 s[0:1], 0
	s_mov_b64 s[6:7], -1
	s_mov_b64 s[8:9], 0
	s_waitcnt vmcnt(0)
	v_cvt_f64_u32_e32 v[4:5], v4
	v_cvt_f64_u32_e32 v[6:7], v3
	v_ldexp_f64 v[4:5], v[4:5], 32
	v_add_f64 v[3:4], v[4:5], v[6:7]
	s_branch .LBB9_885
.LBB9_883:
	s_mov_b64 s[0:1], -1
                                        ; implicit-def: $vgpr3_vgpr4
.LBB9_884:
	s_mov_b64 s[8:9], 0
.LBB9_885:
	s_and_b64 vcc, exec, s[8:9]
	s_cbranch_vccz .LBB9_905
; %bb.886:
	s_cmp_lt_i32 s12, 27
	s_cbranch_scc1 .LBB9_889
; %bb.887:
	s_cmp_gt_i32 s12, 27
	s_cbranch_scc0 .LBB9_890
; %bb.888:
	global_load_dword v3, v[0:1], off
	s_mov_b64 s[6:7], 0
	s_waitcnt vmcnt(0)
	v_cvt_f64_u32_e32 v[3:4], v3
	s_branch .LBB9_891
.LBB9_889:
	s_mov_b64 s[6:7], -1
                                        ; implicit-def: $vgpr3_vgpr4
	s_branch .LBB9_894
.LBB9_890:
	s_mov_b64 s[6:7], -1
                                        ; implicit-def: $vgpr3_vgpr4
.LBB9_891:
	s_andn2_b64 vcc, exec, s[6:7]
	s_cbranch_vccnz .LBB9_893
; %bb.892:
	global_load_ushort v3, v[0:1], off
	s_waitcnt vmcnt(0)
	v_cvt_f64_u32_e32 v[3:4], v3
.LBB9_893:
	s_mov_b64 s[6:7], 0
.LBB9_894:
	s_andn2_b64 vcc, exec, s[6:7]
	s_cbranch_vccnz .LBB9_904
; %bb.895:
	global_load_ubyte v5, v[0:1], off
	s_movk_i32 s6, 0x7f
	s_waitcnt vmcnt(0)
	v_cmp_lt_i16_e32 vcc, s6, v5
	s_mov_b64 s[6:7], 0
	s_and_saveexec_b64 s[8:9], vcc
	s_xor_b64 s[8:9], exec, s[8:9]
	s_cbranch_execz .LBB9_899
; %bb.896:
	s_movk_i32 s6, 0x80
	v_cmp_eq_u16_e32 vcc, s6, v5
	s_mov_b64 s[6:7], -1
	s_and_saveexec_b64 s[10:11], vcc
; %bb.897:
	s_xor_b64 s[6:7], exec, -1
; %bb.898:
	s_or_b64 exec, exec, s[10:11]
	s_and_b64 s[6:7], s[6:7], exec
.LBB9_899:
	s_or_saveexec_b64 s[8:9], s[8:9]
	v_bfrev_b32_e32 v3, 4
	v_mov_b32_e32 v4, 0x7ff80000
	s_xor_b64 exec, exec, s[8:9]
; %bb.900:
	v_cmp_ne_u16_e32 vcc, 0, v5
	v_mov_b32_e32 v3, 0
	s_andn2_b64 s[6:7], s[6:7], exec
	s_and_b64 s[10:11], vcc, exec
	v_mov_b32_e32 v4, 0
	s_or_b64 s[6:7], s[6:7], s[10:11]
; %bb.901:
	s_or_b64 exec, exec, s[8:9]
	s_and_saveexec_b64 s[8:9], s[6:7]
	s_cbranch_execz .LBB9_903
; %bb.902:
	v_and_b32_e32 v4, 0xffff, v5
	v_lshlrev_b32_e32 v3, 24, v5
	v_and_b32_e32 v5, 7, v4
	v_ffbh_u32_e32 v7, v5
	v_min_u32_e32 v7, 32, v7
	v_subrev_u32_e32 v8, 28, v7
	v_bfe_u32 v6, v4, 3, 4
	v_lshlrev_b32_e32 v4, v8, v4
	v_sub_u32_e32 v7, 29, v7
	v_and_b32_e32 v4, 7, v4
	v_cmp_eq_u32_e32 vcc, 0, v6
	v_cndmask_b32_e32 v6, v6, v7, vcc
	v_cndmask_b32_e32 v4, v5, v4, vcc
	v_mov_b32_e32 v5, 0x3b800000
	v_lshlrev_b32_e32 v4, 20, v4
	v_and_b32_e32 v3, 0x80000000, v3
	v_lshl_add_u32 v5, v6, 23, v5
	v_or3_b32 v3, v3, v5, v4
	v_cvt_f64_f32_e32 v[3:4], v3
.LBB9_903:
	s_or_b64 exec, exec, s[8:9]
.LBB9_904:
	s_mov_b64 s[6:7], -1
.LBB9_905:
	s_mov_b64 s[8:9], 0
.LBB9_906:
	s_and_b64 vcc, exec, s[8:9]
	s_cbranch_vccz .LBB9_937
; %bb.907:
	s_cmp_gt_i32 s12, 22
	s_cbranch_scc0 .LBB9_919
; %bb.908:
	s_cmp_lt_i32 s12, 24
	s_cbranch_scc1 .LBB9_920
; %bb.909:
	s_cmp_gt_i32 s12, 24
	s_cbranch_scc0 .LBB9_921
; %bb.910:
	global_load_ubyte v5, v[0:1], off
	s_movk_i32 s2, 0x7f
	s_waitcnt vmcnt(0)
	v_cmp_lt_i16_e32 vcc, s2, v5
	s_mov_b64 s[2:3], 0
	s_and_saveexec_b64 s[6:7], vcc
	s_xor_b64 s[6:7], exec, s[6:7]
	s_cbranch_execz .LBB9_914
; %bb.911:
	s_movk_i32 s2, 0x80
	v_cmp_eq_u16_e32 vcc, s2, v5
	s_mov_b64 s[2:3], -1
	s_and_saveexec_b64 s[8:9], vcc
; %bb.912:
	s_xor_b64 s[2:3], exec, -1
; %bb.913:
	s_or_b64 exec, exec, s[8:9]
	s_and_b64 s[2:3], s[2:3], exec
.LBB9_914:
	s_or_saveexec_b64 s[6:7], s[6:7]
	v_bfrev_b32_e32 v3, 4
	v_mov_b32_e32 v4, 0x7ff80000
	s_xor_b64 exec, exec, s[6:7]
; %bb.915:
	v_cmp_ne_u16_e32 vcc, 0, v5
	v_mov_b32_e32 v3, 0
	s_andn2_b64 s[2:3], s[2:3], exec
	s_and_b64 s[8:9], vcc, exec
	v_mov_b32_e32 v4, 0
	s_or_b64 s[2:3], s[2:3], s[8:9]
; %bb.916:
	s_or_b64 exec, exec, s[6:7]
	s_and_saveexec_b64 s[6:7], s[2:3]
	s_cbranch_execz .LBB9_918
; %bb.917:
	v_and_b32_e32 v4, 0xffff, v5
	v_lshlrev_b32_e32 v3, 24, v5
	v_and_b32_e32 v5, 3, v4
	v_ffbh_u32_e32 v7, v5
	v_min_u32_e32 v7, 32, v7
	v_subrev_u32_e32 v8, 29, v7
	v_bfe_u32 v6, v4, 2, 5
	v_lshlrev_b32_e32 v4, v8, v4
	v_sub_u32_e32 v7, 30, v7
	v_and_b32_e32 v4, 3, v4
	v_cmp_eq_u32_e32 vcc, 0, v6
	v_cndmask_b32_e32 v6, v6, v7, vcc
	v_cndmask_b32_e32 v4, v5, v4, vcc
	v_mov_b32_e32 v5, 0x37800000
	v_lshlrev_b32_e32 v4, 21, v4
	v_and_b32_e32 v3, 0x80000000, v3
	v_lshl_add_u32 v5, v6, 23, v5
	v_or3_b32 v3, v3, v5, v4
	v_cvt_f64_f32_e32 v[3:4], v3
.LBB9_918:
	s_or_b64 exec, exec, s[6:7]
	s_mov_b64 s[2:3], 0
	s_branch .LBB9_922
.LBB9_919:
	s_mov_b64 s[2:3], -1
                                        ; implicit-def: $vgpr3_vgpr4
	s_branch .LBB9_928
.LBB9_920:
	s_mov_b64 s[2:3], -1
                                        ; implicit-def: $vgpr3_vgpr4
	s_branch .LBB9_925
.LBB9_921:
	s_mov_b64 s[2:3], -1
                                        ; implicit-def: $vgpr3_vgpr4
.LBB9_922:
	s_and_b64 vcc, exec, s[2:3]
	s_cbranch_vccz .LBB9_924
; %bb.923:
	global_load_ubyte v3, v[0:1], off
	s_mov_b32 s2, 0x7f800000
	s_waitcnt vmcnt(0)
	v_lshlrev_b32_e32 v3, 24, v3
	v_and_b32_e32 v4, 0x7f000000, v3
	v_ffbh_u32_e32 v5, v4
	v_min_u32_e32 v5, 32, v5
	v_sub_u32_e64 v5, v5, 4 clamp
	v_lshlrev_b32_e32 v7, v5, v4
	v_lshlrev_b32_e32 v5, 23, v5
	v_lshrrev_b32_e32 v7, 4, v7
	v_add_u32_e32 v6, 0x1000000, v4
	v_sub_u32_e32 v5, v7, v5
	v_ashrrev_i32_e32 v6, 8, v6
	v_add_u32_e32 v5, 0x3c000000, v5
	v_and_or_b32 v5, v6, s2, v5
	v_cmp_ne_u32_e32 vcc, 0, v4
	v_cndmask_b32_e32 v4, 0, v5, vcc
	s_brev_b32 s2, 1
	v_and_or_b32 v3, v3, s2, v4
	v_cvt_f64_f32_e32 v[3:4], v3
.LBB9_924:
	s_mov_b64 s[2:3], 0
.LBB9_925:
	s_andn2_b64 vcc, exec, s[2:3]
	s_cbranch_vccnz .LBB9_927
; %bb.926:
	global_load_ubyte v3, v[0:1], off
	s_movk_i32 s2, 0x7f00
	s_brev_b32 s3, 16
	s_waitcnt vmcnt(0)
	v_lshlrev_b16_e32 v4, 8, v3
	v_lshlrev_b32_e32 v3, 25, v3
	v_lshrrev_b32_e32 v5, 4, v3
	v_and_or_b32 v6, v4, s2, 0.5
	v_or_b32_e32 v5, 0x70000000, v5
	v_add_f32_e32 v6, -0.5, v6
	v_mul_f32_e32 v5, 0x7800000, v5
	v_cmp_gt_u32_e32 vcc, s3, v3
	v_bfe_i32 v4, v4, 0, 16
	v_cndmask_b32_e32 v3, v5, v6, vcc
	s_brev_b32 s2, 1
	v_and_or_b32 v3, v4, s2, v3
	v_cvt_f64_f32_e32 v[3:4], v3
.LBB9_927:
	s_mov_b64 s[2:3], 0
	s_mov_b64 s[6:7], -1
.LBB9_928:
	s_andn2_b64 vcc, exec, s[2:3]
	s_mov_b64 s[2:3], 0
	s_cbranch_vccnz .LBB9_937
; %bb.929:
	s_cmp_gt_i32 s12, 14
	s_cbranch_scc0 .LBB9_932
; %bb.930:
	s_cmp_eq_u32 s12, 15
	s_cbranch_scc0 .LBB9_933
; %bb.931:
	global_load_ushort v3, v[0:1], off
	s_mov_b64 s[0:1], 0
	s_mov_b64 s[6:7], -1
	s_waitcnt vmcnt(0)
	v_lshlrev_b32_e32 v3, 16, v3
	v_cvt_f64_f32_e32 v[3:4], v3
	s_branch .LBB9_934
.LBB9_932:
	s_mov_b64 s[8:9], -1
                                        ; implicit-def: $vgpr3_vgpr4
	s_branch .LBB9_935
.LBB9_933:
	s_mov_b64 s[0:1], -1
                                        ; implicit-def: $vgpr3_vgpr4
.LBB9_934:
	s_mov_b64 s[8:9], 0
.LBB9_935:
	s_and_b64 vcc, exec, s[8:9]
	s_cbranch_vccz .LBB9_937
; %bb.936:
	s_cmp_lg_u32 s12, 11
	s_cselect_b64 s[8:9], -1, 0
	s_andn2_b64 s[0:1], s[0:1], exec
	s_and_b64 s[8:9], s[8:9], exec
	s_mov_b64 s[2:3], -1
	s_or_b64 s[0:1], s[0:1], s[8:9]
.LBB9_937:
	s_mov_b64 s[8:9], 0
.LBB9_938:
	s_and_b64 s[10:11], s[6:7], exec
	s_andn2_b64 s[6:7], s[66:67], exec
	s_and_b64 s[0:1], s[0:1], exec
	s_and_b64 s[8:9], s[8:9], exec
	;; [unrolled: 1-line block ×3, first 2 shown]
	s_or_b64 s[12:13], s[6:7], s[0:1]
.LBB9_939:
	s_or_b64 exec, exec, s[70:71]
	s_and_b64 s[0:1], s[2:3], exec
	s_andn2_b64 s[2:3], s[66:67], exec
	s_waitcnt lgkmcnt(0)
	s_and_b64 s[6:7], s[12:13], exec
	s_and_b64 s[10:11], s[10:11], exec
	;; [unrolled: 1-line block ×3, first 2 shown]
	s_or_b64 s[66:67], s[2:3], s[6:7]
.LBB9_940:
	s_or_b64 exec, exec, s[64:65]
	s_andn2_b64 s[2:3], s[60:61], exec
	s_waitcnt lgkmcnt(0)
	s_and_b64 s[6:7], s[68:69], exec
	s_or_b64 s[60:61], s[2:3], s[6:7]
	s_and_b64 s[2:3], s[0:1], exec
	s_andn2_b64 s[0:1], s[58:59], exec
	s_and_b64 s[6:7], s[66:67], exec
	s_and_b64 s[10:11], s[10:11], exec
	;; [unrolled: 1-line block ×3, first 2 shown]
	s_or_b64 s[58:59], s[0:1], s[6:7]
.LBB9_941:
	s_or_b64 exec, exec, s[62:63]
	s_andn2_b64 s[0:1], s[52:53], exec
	s_waitcnt lgkmcnt(0)
	s_and_b64 s[6:7], s[60:61], exec
	s_or_b64 s[52:53], s[0:1], s[6:7]
	s_and_b64 s[60:61], s[2:3], exec
	s_andn2_b64 s[2:3], s[54:55], exec
	s_and_b64 s[6:7], s[58:59], exec
	s_and_b64 s[0:1], s[10:11], exec
	;; [unrolled: 1-line block ×3, first 2 shown]
	s_or_b64 s[54:55], s[2:3], s[6:7]
	s_or_b64 exec, exec, s[56:57]
	s_mov_b64 s[2:3], 0
	s_and_saveexec_b64 s[6:7], s[54:55]
	s_cbranch_execz .LBB9_282
.LBB9_942:
	s_mov_b64 s[2:3], exec
	s_andn2_b64 s[60:61], s[60:61], exec
	s_trap 2
	s_or_b64 exec, exec, s[6:7]
	s_and_saveexec_b64 s[6:7], s[60:61]
	s_xor_b64 s[6:7], exec, s[6:7]
	s_cbranch_execnz .LBB9_283
.LBB9_943:
	s_or_b64 exec, exec, s[6:7]
	s_and_saveexec_b64 s[6:7], s[8:9]
	s_cbranch_execz .LBB9_989
.LBB9_944:
	s_sext_i32_i16 s8, s74
	s_cmp_lt_i32 s8, 5
	s_cbranch_scc1 .LBB9_949
; %bb.945:
	s_cmp_lt_i32 s8, 8
	s_cbranch_scc1 .LBB9_950
; %bb.946:
	;; [unrolled: 3-line block ×3, first 2 shown]
	s_cmp_gt_i32 s8, 9
	s_cbranch_scc0 .LBB9_952
; %bb.948:
	global_load_dwordx2 v[3:4], v[0:1], off
	s_mov_b64 s[8:9], 0
	s_branch .LBB9_953
.LBB9_949:
                                        ; implicit-def: $vgpr3_vgpr4
	s_branch .LBB9_970
.LBB9_950:
                                        ; implicit-def: $vgpr3_vgpr4
	s_branch .LBB9_959
.LBB9_951:
	s_mov_b64 s[8:9], -1
                                        ; implicit-def: $vgpr3_vgpr4
	s_branch .LBB9_956
.LBB9_952:
	s_mov_b64 s[8:9], -1
                                        ; implicit-def: $vgpr3_vgpr4
.LBB9_953:
	s_andn2_b64 vcc, exec, s[8:9]
	s_cbranch_vccnz .LBB9_955
; %bb.954:
	global_load_dword v3, v[0:1], off
	s_waitcnt vmcnt(0)
	v_cvt_f64_f32_e32 v[3:4], v3
.LBB9_955:
	s_mov_b64 s[8:9], 0
.LBB9_956:
	s_andn2_b64 vcc, exec, s[8:9]
	s_cbranch_vccnz .LBB9_958
; %bb.957:
	global_load_dword v3, v[0:1], off
	s_waitcnt vmcnt(0)
	v_cvt_f32_f16_e32 v3, v3
	v_cvt_f64_f32_e32 v[3:4], v3
.LBB9_958:
	s_cbranch_execnz .LBB9_969
.LBB9_959:
	s_sext_i32_i16 s8, s74
	s_cmp_lt_i32 s8, 6
	s_cbranch_scc1 .LBB9_962
; %bb.960:
	s_cmp_gt_i32 s8, 6
	s_cbranch_scc0 .LBB9_963
; %bb.961:
	global_load_dwordx2 v[3:4], v[0:1], off
	s_mov_b64 s[8:9], 0
	s_branch .LBB9_964
.LBB9_962:
	s_mov_b64 s[8:9], -1
                                        ; implicit-def: $vgpr3_vgpr4
	s_branch .LBB9_967
.LBB9_963:
	s_mov_b64 s[8:9], -1
                                        ; implicit-def: $vgpr3_vgpr4
.LBB9_964:
	s_andn2_b64 vcc, exec, s[8:9]
	s_cbranch_vccnz .LBB9_966
; %bb.965:
	global_load_dword v3, v[0:1], off
	s_waitcnt vmcnt(0)
	v_cvt_f64_f32_e32 v[3:4], v3
.LBB9_966:
	s_mov_b64 s[8:9], 0
.LBB9_967:
	s_andn2_b64 vcc, exec, s[8:9]
	s_cbranch_vccnz .LBB9_969
; %bb.968:
	global_load_ushort v3, v[0:1], off
	s_waitcnt vmcnt(0)
	v_cvt_f32_f16_e32 v3, v3
	v_cvt_f64_f32_e32 v[3:4], v3
.LBB9_969:
	s_cbranch_execnz .LBB9_988
.LBB9_970:
	s_sext_i32_i16 s8, s74
	s_cmp_lt_i32 s8, 2
	s_cbranch_scc1 .LBB9_974
; %bb.971:
	s_cmp_lt_i32 s8, 3
	s_cbranch_scc1 .LBB9_975
; %bb.972:
	s_cmp_gt_i32 s8, 3
	s_cbranch_scc0 .LBB9_976
; %bb.973:
	global_load_dwordx2 v[3:4], v[0:1], off
	s_mov_b64 s[8:9], 0
	s_waitcnt vmcnt(0)
	v_cvt_f64_i32_e32 v[4:5], v4
	v_cvt_f64_u32_e32 v[6:7], v3
	v_ldexp_f64 v[4:5], v[4:5], 32
	v_add_f64 v[3:4], v[4:5], v[6:7]
	s_branch .LBB9_977
.LBB9_974:
                                        ; implicit-def: $vgpr3_vgpr4
	s_branch .LBB9_983
.LBB9_975:
	s_mov_b64 s[8:9], -1
                                        ; implicit-def: $vgpr3_vgpr4
	s_branch .LBB9_980
.LBB9_976:
	s_mov_b64 s[8:9], -1
                                        ; implicit-def: $vgpr3_vgpr4
.LBB9_977:
	s_andn2_b64 vcc, exec, s[8:9]
	s_cbranch_vccnz .LBB9_979
; %bb.978:
	global_load_dword v3, v[0:1], off
	s_waitcnt vmcnt(0)
	v_cvt_f64_i32_e32 v[3:4], v3
.LBB9_979:
	s_mov_b64 s[8:9], 0
.LBB9_980:
	s_andn2_b64 vcc, exec, s[8:9]
	s_cbranch_vccnz .LBB9_982
; %bb.981:
	global_load_sshort v3, v[0:1], off
	s_waitcnt vmcnt(0)
	v_cvt_f64_i32_e32 v[3:4], v3
.LBB9_982:
	s_cbranch_execnz .LBB9_988
.LBB9_983:
	s_sext_i32_i16 s8, s74
	s_cmp_gt_i32 s8, 0
	s_cbranch_scc0 .LBB9_985
; %bb.984:
	global_load_sbyte v3, v[0:1], off
	s_mov_b64 s[8:9], 0
	s_waitcnt vmcnt(0)
	v_cvt_f64_i32_e32 v[3:4], v3
	s_branch .LBB9_986
.LBB9_985:
	s_mov_b64 s[8:9], -1
                                        ; implicit-def: $vgpr3_vgpr4
.LBB9_986:
	s_andn2_b64 vcc, exec, s[8:9]
	s_cbranch_vccnz .LBB9_988
; %bb.987:
	global_load_ubyte v0, v[0:1], off
	s_waitcnt vmcnt(0)
	v_cvt_f64_u32_e32 v[3:4], v0
.LBB9_988:
	s_or_b64 s[0:1], s[0:1], exec
.LBB9_989:
	s_or_b64 exec, exec, s[6:7]
	s_mov_b64 s[10:11], 0
	s_mov_b64 s[8:9], 0
                                        ; implicit-def: $sgpr16
                                        ; implicit-def: $vgpr5_vgpr6
                                        ; implicit-def: $vgpr0_vgpr1
	s_and_saveexec_b64 s[6:7], s[0:1]
	s_cbranch_execz .LBB9_1005
; %bb.990:
	s_waitcnt vmcnt(0)
	v_cmp_neq_f64_e32 vcc, 0, v[3:4]
	v_mov_b32_e32 v0, 0
	v_mov_b32_e32 v1, 0x7ff00000
	s_and_saveexec_b64 s[8:9], vcc
	s_cbranch_execz .LBB9_998
; %bb.991:
	v_cmp_ngt_f64_e32 vcc, 0, v[3:4]
	v_mov_b32_e32 v0, 0
	v_mov_b32_e32 v1, 0x7ff80000
	s_and_saveexec_b64 s[10:11], vcc
	s_cbranch_execz .LBB9_997
; %bb.992:
	v_cmp_ge_f64_e32 vcc, 2.0, v[3:4]
                                        ; implicit-def: $vgpr0_vgpr1
	s_and_saveexec_b64 s[0:1], vcc
	s_xor_b64 s[12:13], exec, s[0:1]
	s_cbranch_execz .LBB9_994
; %bb.993:
	v_fma_f64 v[0:1], v[3:4], 0.5, -2.0
	v_mov_b32_e32 v5, 0x977da589
	v_mov_b32_e32 v6, 0x3c833362
	s_mov_b32 s1, 0xbc545cb7
	s_mov_b32 s0, 0x2134d0ef
	s_mov_b32 s14, 0x7a946abc
	s_mov_b32 s15, 0xbdb2fc95
	s_mov_b32 s36, 0x998ef7b6
	v_fma_f64 v[5:6], v[0:1], s[0:1], v[5:6]
	s_mov_b32 s1, 0x3c545cb7
	s_mov_b32 s37, 0x3fd99999
	;; [unrolled: 1-line block ×7, first 2 shown]
	v_fma_f64 v[7:8], v[0:1], v[5:6], s[0:1]
	s_mov_b32 s0, 0x721ebbb4
	s_mov_b32 s1, 0xbcb184eb
	;; [unrolled: 1-line block ×7, first 2 shown]
	v_add_f64 v[7:8], v[7:8], s[0:1]
	s_mov_b32 s0, 0x93f65eba
	s_mov_b32 s1, 0x3cdee6d8
	;; [unrolled: 1-line block ×7, first 2 shown]
	v_fma_f64 v[5:6], v[0:1], v[7:8], -v[5:6]
	s_mov_b32 s19, 0x3f54b82e
	s_mov_b32 s16, 0x554a9085
	;; [unrolled: 1-line block ×3, first 2 shown]
	v_add_f64 v[5:6], v[5:6], s[0:1]
	s_mov_b32 s0, 0xc297fbeb
	s_mov_b32 s1, 0xbd0a5022
	v_fma_f64 v[7:8], v[0:1], v[5:6], -v[7:8]
	v_add_f64 v[7:8], v[7:8], s[0:1]
	s_mov_b32 s0, 0x4b262627
	s_mov_b32 s1, 0x3d359b46
	v_fma_f64 v[5:6], v[0:1], v[7:8], -v[5:6]
	;; [unrolled: 4-line block ×4, first 2 shown]
	v_add_f64 v[9:10], v[5:6], s[0:1]
	v_mul_f64 v[5:6], v[3:4], 0.5
	s_mov_b32 s1, 0x3fe55555
	s_mov_b32 s0, 0x55555555
	v_fma_f64 v[7:8], v[0:1], v[9:10], -v[7:8]
	v_frexp_mant_f64_e32 v[11:12], v[5:6]
	v_frexp_exp_i32_f64_e32 v31, v[5:6]
	v_add_f64 v[7:8], v[7:8], s[14:15]
	v_cmp_gt_f64_e32 vcc, s[0:1], v[11:12]
	s_mov_b32 s14, 0xcc743c10
	s_mov_b32 s15, 0x3dda98be
	;; [unrolled: 1-line block ×3, first 2 shown]
	v_fma_f64 v[9:10], v[0:1], v[7:8], -v[9:10]
	v_cndmask_b32_e64 v13, 0, 1, vcc
	v_ldexp_f64 v[11:12], v[11:12], v13
	v_subbrev_co_u32_e32 v31, vcc, 0, v31, vcc
	v_cvt_f64_i32_e32 v[31:32], v31
	v_add_f64 v[9:10], v[9:10], s[14:15]
	s_mov_b32 s14, 0x13ae9556
	v_add_f64 v[13:14], v[11:12], 1.0
	s_mov_b32 s15, 0xbe01d4fe
	v_add_f64 v[19:20], v[11:12], -1.0
	v_mul_f64 v[33:34], v[31:32], s[38:39]
	v_fma_f64 v[7:8], v[0:1], v[9:10], -v[7:8]
	v_rcp_f64_e32 v[15:16], v[13:14]
	v_add_f64 v[21:22], v[13:14], -1.0
	v_add_f64 v[7:8], v[7:8], s[14:15]
	s_mov_b32 s14, 0xa454cb34
	s_mov_b32 s15, 0x3e26d903
	v_add_f64 v[11:12], v[11:12], -v[21:22]
	v_fma_f64 v[9:10], v[0:1], v[7:8], -v[9:10]
	v_fma_f64 v[17:18], -v[13:14], v[15:16], 1.0
	v_fma_f64 v[15:16], v[17:18], v[15:16], v[15:16]
	v_add_f64 v[17:18], v[9:10], s[14:15]
	s_mov_b32 s14, 0x8c0b30ab
	s_mov_b32 s15, 0xbe4beaf6
	v_fma_f64 v[9:10], -v[13:14], v[15:16], 1.0
	v_fma_f64 v[7:8], v[0:1], v[17:18], -v[7:8]
	v_fma_f64 v[15:16], v[9:10], v[15:16], v[15:16]
	v_add_f64 v[7:8], v[7:8], s[14:15]
	s_mov_b32 s14, 0x9d4d6435
	s_mov_b32 s15, 0x3e703b76
	v_mul_f64 v[9:10], v[19:20], v[15:16]
	v_fma_f64 v[17:18], v[0:1], v[7:8], -v[17:18]
	v_mul_f64 v[23:24], v[13:14], v[9:10]
	v_add_f64 v[17:18], v[17:18], s[14:15]
	s_mov_b32 s14, 0x8f227f8d
	s_mov_b32 s15, 0xbe91ec63
	v_fma_f64 v[13:14], v[9:10], v[13:14], -v[23:24]
	v_fma_f64 v[7:8], v[0:1], v[17:18], -v[7:8]
	v_fma_f64 v[11:12], v[9:10], v[11:12], v[13:14]
	v_add_f64 v[7:8], v[7:8], s[14:15]
	s_mov_b32 s14, 0x978cf4ac
	s_mov_b32 s15, 0x3eb2bf24
	v_add_f64 v[13:14], v[23:24], v[11:12]
	v_fma_f64 v[17:18], v[0:1], v[7:8], -v[17:18]
	v_add_f64 v[21:22], v[19:20], -v[13:14]
	v_add_f64 v[17:18], v[17:18], s[14:15]
	v_add_f64 v[23:24], v[13:14], -v[23:24]
	s_mov_b32 s14, 0xcba56427
	s_mov_b32 s15, 0xbed2866f
	v_add_f64 v[19:20], v[19:20], -v[21:22]
	v_fma_f64 v[7:8], v[0:1], v[17:18], -v[7:8]
	v_add_f64 v[11:12], v[23:24], -v[11:12]
	v_mov_b32_e32 v23, 0x6b47b09a
	v_mov_b32_e32 v24, 0x3fc38538
	v_add_f64 v[13:14], v[19:20], -v[13:14]
	v_add_f64 v[7:8], v[7:8], s[14:15]
	s_mov_b32 s14, 0xbe9a2859
	s_mov_b32 s15, 0x3ef13f58
	v_add_f64 v[11:12], v[11:12], v[13:14]
	v_fma_f64 v[13:14], v[0:1], v[7:8], -v[17:18]
	v_mov_b32_e32 v17, 0xc384c2aa
	v_mov_b32_e32 v18, 0x3d27fb0a
	v_add_f64 v[11:12], v[21:22], v[11:12]
	v_add_f64 v[13:14], v[13:14], s[14:15]
	s_mov_b32 s14, 0x59c41d5a
	s_mov_b32 s15, 0xbf0e2b26
	v_mul_f64 v[11:12], v[15:16], v[11:12]
	v_fma_f64 v[15:16], v[0:1], v[13:14], -v[7:8]
	v_fma_f64 v[7:8], v[3:4], v[3:4], -2.0
	v_add_f64 v[19:20], v[9:10], v[11:12]
	v_add_f64 v[15:16], v[15:16], s[14:15]
	s_mov_b32 s14, 0xbf559e2b
	s_mov_b32 s15, 0x3fc3ab76
	v_fma_f64 v[17:18], v[7:8], s[28:29], v[17:18]
	s_mov_b32 s29, 0xbca3cee1
	v_mul_f64 v[21:22], v[19:20], v[19:20]
	v_fma_f64 v[13:14], v[0:1], v[15:16], -v[13:14]
	v_ldexp_f64 v[27:28], v[19:20], 1
	v_add_f64 v[9:10], v[19:20], -v[9:10]
	v_fma_f64 v[29:30], v[7:8], v[17:18], s[28:29]
	s_mov_b32 s28, 0xf121b6f0
	s_mov_b32 s29, 0xbf984e9e
	v_fma_f64 v[23:24], v[21:22], s[14:15], v[23:24]
	s_mov_b32 s14, 0x74107cab
	s_mov_b32 s15, 0x3f28b51b
	v_add_f64 v[13:14], v[13:14], s[14:15]
	s_mov_b32 s14, 0xd7f4df2e
	s_mov_b32 s15, 0x3fc7474d
	v_mul_f64 v[25:26], v[19:20], v[21:22]
	v_add_f64 v[29:30], v[29:30], s[30:31]
	v_fma_f64 v[23:24], v[21:22], v[23:24], s[14:15]
	s_mov_b32 s14, 0x16291751
	s_mov_b32 s15, 0x3fcc71c0
	v_fma_f64 v[15:16], v[0:1], v[13:14], -v[15:16]
	v_add_f64 v[11:12], v[11:12], -v[9:10]
	v_fma_f64 v[17:18], v[7:8], v[29:30], -v[17:18]
	v_fma_f64 v[23:24], v[21:22], v[23:24], s[14:15]
	s_mov_b32 s14, 0x1f15eb52
	s_mov_b32 s15, 0xbf42e2fd
	v_add_f64 v[15:16], v[15:16], s[14:15]
	s_mov_b32 s14, 0x9b27acf1
	s_mov_b32 s15, 0x3fd24924
	v_ldexp_f64 v[11:12], v[11:12], 1
	v_add_f64 v[17:18], v[17:18], s[26:27]
	v_fma_f64 v[23:24], v[21:22], v[23:24], s[14:15]
	s_mov_b32 s26, 0x623fde64
	s_mov_b32 s27, 0x3ec71dee
	v_fma_f64 v[13:14], v[0:1], v[15:16], -v[13:14]
	s_mov_b32 s14, 0x81213db9
	s_mov_b32 s15, 0x3fd608d8
	v_fma_f64 v[29:30], v[7:8], v[17:18], -v[29:30]
	v_fma_f64 v[23:24], v[21:22], v[23:24], s[36:37]
	s_mov_b32 s36, 0x8a12100e
	s_mov_b32 s37, 0x3f5adc75
	v_add_f64 v[13:14], v[13:14], s[36:37]
	s_mov_b32 s36, 0x652b82fe
	s_mov_b32 s37, 0x3ff71547
	v_add_f64 v[29:30], v[29:30], s[22:23]
	v_fma_f64 v[21:22], v[21:22], v[23:24], s[0:1]
	s_mov_b32 s0, 0x201aa849
	s_mov_b32 s1, 0xbf71b65e
	v_fma_f64 v[15:16], v[0:1], v[13:14], -v[15:16]
	v_mov_b32_e32 v23, 0xfca7ab0c
	v_mov_b32_e32 v24, 0x3e928af3
	s_mov_b32 s22, 0x14761f6e
	v_fma_f64 v[17:18], v[7:8], v[29:30], -v[17:18]
	v_mul_f64 v[21:22], v[25:26], v[21:22]
	v_mul_f64 v[25:26], v[3:4], s[36:37]
	s_mov_b32 s23, 0x3f2a01a0
	v_add_f64 v[15:16], v[15:16], s[0:1]
	s_mov_b32 s0, 0xf3dde3dd
	s_mov_b32 s1, 0x3f859961
	v_add_f64 v[17:18], v[17:18], s[20:21]
	v_add_f64 v[19:20], v[27:28], v[21:22]
	v_rndne_f64_e32 v[9:10], v[25:26]
	v_fma_f64 v[25:26], v[31:32], s[38:39], -v[33:34]
	v_fma_f64 v[13:14], v[0:1], v[15:16], -v[13:14]
	s_mov_b32 s39, 0xbfe62e42
	s_mov_b32 s20, 0x77ac88c0
	;; [unrolled: 1-line block ×3, first 2 shown]
	v_add_f64 v[27:28], v[19:20], -v[27:28]
	v_fma_f64 v[3:4], v[9:10], s[38:39], v[3:4]
	v_fma_f64 v[25:26], v[31:32], s[46:47], v[25:26]
	v_add_f64 v[13:14], v[13:14], s[0:1]
	s_mov_b32 s47, 0xbc7abc9e
	s_mov_b32 s0, 0x6a5dcb37
	;; [unrolled: 1-line block ×3, first 2 shown]
	v_add_f64 v[21:22], v[21:22], -v[27:28]
	v_fma_f64 v[3:4], v[9:10], s[46:47], v[3:4]
	v_fma_f64 v[15:16], v[0:1], v[13:14], -v[15:16]
	v_add_f64 v[11:12], v[11:12], v[21:22]
	v_add_f64 v[21:22], v[33:34], v[25:26]
	v_fma_f64 v[23:24], v[3:4], s[0:1], v[23:24]
	v_add_f64 v[15:16], v[15:16], s[28:29]
	s_mov_b32 s28, 0xcea8a32d
	s_mov_b32 s29, 0x3fa93e8a
	;; [unrolled: 1-line block ×4, first 2 shown]
	v_add_f64 v[27:28], v[19:20], v[11:12]
	v_add_f64 v[33:34], v[21:22], -v[33:34]
	v_fma_f64 v[23:24], v[3:4], v[23:24], s[26:27]
	v_fma_f64 v[13:14], v[0:1], v[15:16], -v[13:14]
	s_mov_b32 s26, 0x1852b7b0
	s_mov_b32 s27, 0x3f56c16c
	v_add_f64 v[31:32], v[21:22], v[27:28]
	v_add_f64 v[19:20], v[27:28], -v[19:20]
	v_fma_f64 v[23:24], v[3:4], v[23:24], s[0:1]
	v_add_f64 v[13:14], v[13:14], s[28:29]
	s_mov_b32 s0, 0x342d06ea
	s_mov_b32 s1, 0xbfb84b70
	v_add_f64 v[25:26], v[25:26], -v[33:34]
	v_add_f64 v[35:36], v[31:32], -v[21:22]
	;; [unrolled: 1-line block ×3, first 2 shown]
	v_fma_f64 v[23:24], v[3:4], v[23:24], s[22:23]
	v_fma_f64 v[15:16], v[0:1], v[13:14], -v[15:16]
	v_add_f64 v[37:38], v[31:32], -v[35:36]
	v_add_f64 v[19:20], v[27:28], -v[35:36]
	v_fma_f64 v[27:28], v[7:8], v[17:18], -v[29:30]
	v_add_f64 v[15:16], v[15:16], s[0:1]
	v_fma_f64 v[23:24], v[3:4], v[23:24], s[26:27]
	s_mov_b32 s0, 0x11122322
	s_mov_b32 s1, 0x3f811111
	v_add_f64 v[29:30], v[25:26], v[11:12]
	v_add_f64 v[21:22], v[21:22], -v[37:38]
	v_fma_f64 v[13:14], v[0:1], v[15:16], -v[13:14]
	v_fma_f64 v[23:24], v[3:4], v[23:24], s[0:1]
	s_mov_b32 s0, 0x555502a1
	s_mov_b32 s1, 0x3fa55555
	v_add_f64 v[19:20], v[19:20], v[21:22]
	v_add_f64 v[21:22], v[27:28], s[18:19]
	s_mov_b32 s18, 0x55555511
	v_add_f64 v[13:14], v[13:14], s[20:21]
	v_fma_f64 v[23:24], v[3:4], v[23:24], s[0:1]
	v_add_f64 v[27:28], v[29:30], -v[25:26]
	s_mov_b32 s0, 0xc057cd8d
	s_mov_b32 s19, 0x3fc55555
	v_add_f64 v[19:20], v[29:30], v[19:20]
	v_fma_f64 v[17:18], v[7:8], v[21:22], -v[17:18]
	s_mov_b32 s1, 0xbfd37feb
	v_fma_f64 v[15:16], v[0:1], v[13:14], -v[15:16]
	v_fma_f64 v[23:24], v[3:4], v[23:24], s[18:19]
	v_add_f64 v[29:30], v[29:30], -v[27:28]
	v_add_f64 v[11:12], v[11:12], -v[27:28]
	v_add_f64 v[33:34], v[31:32], v[19:20]
	v_add_f64 v[17:18], v[17:18], s[16:17]
	;; [unrolled: 1-line block ×3, first 2 shown]
	s_mov_b32 s0, 11
	s_mov_b32 s1, 0x3fe00000
	v_fma_f64 v[23:24], v[3:4], v[23:24], s[0:1]
	v_add_f64 v[25:26], v[25:26], -v[29:30]
	v_add_f64 v[27:28], v[33:34], -v[31:32]
	v_fma_f64 v[21:22], v[7:8], v[17:18], -v[21:22]
	s_mov_b32 s0, 0x9035a22a
	v_fma_f64 v[0:1], v[0:1], v[15:16], -v[13:14]
	s_mov_b32 s1, 0x3fe5a84e
	v_add_f64 v[11:12], v[11:12], v[25:26]
	v_add_f64 v[15:16], v[19:20], -v[27:28]
	v_add_f64 v[19:20], v[21:22], s[14:15]
	v_fma_f64 v[21:22], v[3:4], v[23:24], 1.0
	v_add_f64 v[0:1], v[0:1], s[0:1]
	s_mov_b32 s0, 0xe9d2f61f
	s_mov_b32 s1, 0xbfe12166
	v_add_f64 v[11:12], v[11:12], v[15:16]
	v_fma_f64 v[7:8], v[7:8], v[19:20], -v[17:18]
	v_fma_f64 v[3:4], v[3:4], v[21:22], 1.0
	v_add_f64 v[0:1], v[0:1], -v[13:14]
	v_cvt_i32_f64_e32 v13, v[9:10]
	v_add_f64 v[9:10], v[33:34], v[11:12]
	v_add_f64 v[7:8], v[7:8], s[0:1]
	v_ldexp_f64 v[3:4], v[3:4], v13
	v_mul_f64 v[0:1], v[0:1], 0.5
	s_mov_b32 s0, 0
	s_mov_b32 s1, 0x7ff00000
	v_cmp_neq_f64_e32 vcc, s[0:1], v[5:6]
	v_cmp_neq_f64_e64 s[0:1], 0, v[5:6]
	v_mov_b32_e32 v11, 0x7ff00000
	v_add_f64 v[5:6], v[7:8], -v[17:18]
	v_mul_f64 v[0:1], v[3:4], v[0:1]
	v_cndmask_b32_e32 v10, v11, v10, vcc
	v_mov_b32_e32 v11, 0xfff00000
	s_and_b64 vcc, s[0:1], vcc
	v_cndmask_b32_e64 v8, v11, v10, s[0:1]
	v_cndmask_b32_e32 v7, 0, v9, vcc
	v_mul_f64 v[0:1], v[7:8], v[0:1]
	v_fma_f64 v[0:1], v[5:6], 0.5, -v[0:1]
	v_mul_f64 v[0:1], v[3:4], v[0:1]
                                        ; implicit-def: $vgpr3_vgpr4
.LBB9_994:
	s_andn2_saveexec_b64 s[0:1], s[12:13]
	s_cbranch_execz .LBB9_996
; %bb.995:
	s_mov_b32 s12, 0
	s_mov_b32 s13, 0x40200000
	v_div_scale_f64 v[0:1], s[14:15], v[3:4], v[3:4], s[12:13]
	v_rcp_f64_e32 v[5:6], v[0:1]
	v_fma_f64 v[7:8], -v[0:1], v[5:6], 1.0
	v_fma_f64 v[5:6], v[5:6], v[7:8], v[5:6]
	v_div_scale_f64 v[7:8], vcc, s[12:13], v[3:4], s[12:13]
	v_fma_f64 v[9:10], -v[0:1], v[5:6], 1.0
	v_fma_f64 v[5:6], v[5:6], v[9:10], v[5:6]
	v_mul_f64 v[9:10], v[7:8], v[5:6]
	v_fma_f64 v[0:1], -v[0:1], v[9:10], v[7:8]
	v_div_fmas_f64 v[0:1], v[0:1], v[5:6], v[9:10]
	v_mov_b32_e32 v5, 0x93812603
	v_mov_b32_e32 v6, 0xbc72fecc
	;; [unrolled: 1-line block ×3, first 2 shown]
	v_div_fixup_f64 v[0:1], v[0:1], v[3:4], s[12:13]
	s_mov_b32 s13, 0x3c5871a5
	s_mov_b32 s12, 0xcf8c9ee1
	v_add_f64 v[0:1], v[0:1], -2.0
	v_fma_f64 v[5:6], v[0:1], s[12:13], v[5:6]
	s_mov_b32 s13, 0xbc5871a5
	v_fma_f64 v[7:8], v[0:1], v[5:6], s[12:13]
	s_mov_b32 s12, 0x41a8cdf4
	s_mov_b32 s13, 0x3c8e092e
	v_add_f64 v[7:8], v[7:8], s[12:13]
	s_mov_b32 s12, 0x74d77641
	s_mov_b32 s13, 0xbca82f94
	v_fma_f64 v[5:6], v[0:1], v[7:8], -v[5:6]
	v_add_f64 v[5:6], v[5:6], s[12:13]
	s_mov_b32 s12, 0x6b94785b
	s_mov_b32 s13, 0x3cc3dbf9
	v_fma_f64 v[7:8], v[0:1], v[5:6], -v[7:8]
	;; [unrolled: 4-line block ×17, first 2 shown]
	v_add_f64 v[5:6], v[5:6], s[12:13]
	s_mov_b32 s12, 0
	s_brev_b32 s13, 8
	v_cmp_gt_f64_e32 vcc, s[12:13], v[3:4]
	s_mov_b32 s12, 0xcc7470a9
	s_mov_b32 s13, 0x3eed413f
	v_fma_f64 v[7:8], v[0:1], v[5:6], -v[7:8]
	v_cndmask_b32_e32 v9, 0, v9, vcc
	v_ldexp_f64 v[3:4], v[3:4], v9
	v_add_f64 v[7:8], v[7:8], s[12:13]
	s_mov_b32 s12, 0xe7889f42
	s_mov_b32 s13, 0xbf20d797
	v_rsq_f64_e32 v[9:10], v[3:4]
	v_fma_f64 v[5:6], v[0:1], v[7:8], -v[5:6]
	v_add_f64 v[5:6], v[5:6], s[12:13]
	s_mov_b32 s12, 0xfca79342
	s_mov_b32 s13, 0x3f59b891
	v_mul_f64 v[11:12], v[3:4], v[9:10]
	v_mul_f64 v[9:10], v[9:10], 0.5
	v_fma_f64 v[7:8], v[0:1], v[5:6], -v[7:8]
	v_fma_f64 v[13:14], -v[9:10], v[11:12], 0.5
	v_add_f64 v[7:8], v[7:8], s[12:13]
	s_mov_b32 s12, 0x2d4ff71e
	s_mov_b32 s13, 0xbfa019f7
	v_fma_f64 v[11:12], v[11:12], v[13:14], v[11:12]
	v_fma_f64 v[9:10], v[9:10], v[13:14], v[9:10]
	v_fma_f64 v[5:6], v[0:1], v[7:8], -v[5:6]
	v_fma_f64 v[13:14], -v[11:12], v[11:12], v[3:4]
	v_add_f64 v[5:6], v[5:6], s[12:13]
	s_mov_b32 s12, 0x9f4e6907
	s_mov_b32 s13, 0x400385bd
	v_fma_f64 v[11:12], v[13:14], v[9:10], v[11:12]
	v_fma_f64 v[0:1], v[0:1], v[5:6], -v[7:8]
	v_fma_f64 v[5:6], -v[11:12], v[11:12], v[3:4]
	v_add_f64 v[0:1], v[0:1], s[12:13]
	v_fma_f64 v[5:6], v[5:6], v[9:10], v[11:12]
	v_add_f64 v[0:1], v[0:1], -v[7:8]
	v_mov_b32_e32 v7, 0xffffff80
	v_mov_b32_e32 v8, 0x260
	v_cndmask_b32_e32 v7, 0, v7, vcc
	v_cmp_class_f64_e32 vcc, v[3:4], v8
	v_ldexp_f64 v[5:6], v[5:6], v7
	v_mul_f64 v[0:1], v[0:1], 0.5
	v_cndmask_b32_e32 v4, v6, v4, vcc
	v_cndmask_b32_e32 v3, v5, v3, vcc
	v_div_scale_f64 v[5:6], s[12:13], v[3:4], v[3:4], v[0:1]
	v_div_scale_f64 v[11:12], vcc, v[0:1], v[3:4], v[0:1]
	v_rcp_f64_e32 v[7:8], v[5:6]
	v_fma_f64 v[9:10], -v[5:6], v[7:8], 1.0
	v_fma_f64 v[7:8], v[7:8], v[9:10], v[7:8]
	v_fma_f64 v[9:10], -v[5:6], v[7:8], 1.0
	v_fma_f64 v[7:8], v[7:8], v[9:10], v[7:8]
	v_mul_f64 v[9:10], v[11:12], v[7:8]
	v_fma_f64 v[5:6], -v[5:6], v[9:10], v[11:12]
	v_div_fmas_f64 v[5:6], v[5:6], v[7:8], v[9:10]
	v_div_fixup_f64 v[0:1], v[5:6], v[3:4], v[0:1]
.LBB9_996:
	s_or_b64 exec, exec, s[0:1]
.LBB9_997:
	s_or_b64 exec, exec, s[10:11]
.LBB9_998:
	s_or_b64 exec, exec, s[8:9]
	v_mov_b32_e32 v3, s25
	s_and_b32 s16, s73, 0xff
	v_add_co_u32_e32 v5, vcc, s24, v2
	s_cmp_lt_i32 s16, 11
	v_addc_co_u32_e32 v6, vcc, 0, v3, vcc
	s_cbranch_scc1 .LBB9_1008
; %bb.999:
	s_and_b32 s17, 0xffff, s16
	s_mov_b64 s[10:11], -1
	s_cmp_gt_i32 s17, 25
	s_mov_b64 s[0:1], s[52:53]
	s_cbranch_scc0 .LBB9_1036
; %bb.1000:
	s_mov_b64 s[8:9], -1
	s_cmp_gt_i32 s17, 28
	s_mov_b64 s[0:1], s[52:53]
	s_cbranch_scc0 .LBB9_1020
; %bb.1001:
	s_cmp_gt_i32 s17, 43
	s_mov_b64 s[0:1], s[52:53]
	s_cbranch_scc0 .LBB9_1016
; %bb.1002:
	;; [unrolled: 4-line block ×3, first 2 shown]
	s_cmp_eq_u32 s17, 46
	s_mov_b64 s[0:1], -1
	s_cbranch_scc0 .LBB9_1009
; %bb.1004:
	v_cvt_f32_f64_e32 v2, v[0:1]
	s_movk_i32 s0, 0x7fff
	v_mov_b32_e32 v3, 0x7fc0
	s_mov_b64 s[8:9], 0
	v_bfe_u32 v4, v2, 16, 1
	v_cmp_o_f32_e32 vcc, v2, v2
	v_add3_u32 v2, v2, v4, s0
	v_cndmask_b32_sdwa v2, v3, v2, vcc dst_sel:DWORD dst_unused:UNUSED_PAD src0_sel:DWORD src1_sel:WORD_1
	global_store_dword v[5:6], v2, off
	s_mov_b64 s[0:1], 0
	s_branch .LBB9_1010
.LBB9_1005:
	s_or_b64 exec, exec, s[6:7]
	s_and_saveexec_b64 s[0:1], s[52:53]
	s_cbranch_execnz .LBB9_1078
.LBB9_1006:
	s_or_b64 exec, exec, s[0:1]
	s_and_saveexec_b64 s[0:1], s[10:11]
	s_xor_b64 s[0:1], exec, s[0:1]
	s_cbranch_execz .LBB9_1079
.LBB9_1007:
	v_cmp_neq_f64_e32 vcc, 0, v[0:1]
	v_cndmask_b32_e64 v2, 0, 1, vcc
	global_store_byte v[5:6], v2, off
	s_or_b64 exec, exec, s[0:1]
	s_and_saveexec_b64 s[0:1], s[8:9]
	s_xor_b64 s[0:1], exec, s[0:1]
	s_cbranch_execz .LBB9_1117
	s_branch .LBB9_1080
.LBB9_1008:
	s_mov_b64 s[10:11], 0
	s_mov_b64 s[8:9], -1
	s_mov_b64 s[0:1], s[52:53]
	s_branch .LBB9_1077
.LBB9_1009:
	s_mov_b64 s[8:9], 0
.LBB9_1010:
	s_and_b64 vcc, exec, s[8:9]
	s_cbranch_vccz .LBB9_1015
; %bb.1011:
	s_cmp_eq_u32 s17, 44
	s_mov_b64 s[0:1], -1
	s_cbranch_scc0 .LBB9_1015
; %bb.1012:
	v_cvt_f32_f64_e32 v2, v[0:1]
	s_movk_i32 s0, 0xff
	v_mov_b32_e32 v4, 0xff
	v_bfe_u32 v3, v2, 23, 8
	v_cmp_ne_u32_e32 vcc, s0, v3
	s_and_saveexec_b64 s[8:9], vcc
; %bb.1013:
	s_mov_b32 s0, 0x3fffff
	v_lshrrev_b32_e32 v4, 23, v2
	v_and_b32_e32 v7, 0x400000, v2
	v_and_or_b32 v2, v2, s0, v3
	v_cmp_ne_u32_e32 vcc, 0, v7
	v_cmp_ne_u32_e64 s[0:1], 0, v2
	s_and_b64 s[0:1], vcc, s[0:1]
	v_cndmask_b32_e64 v2, 0, 1, s[0:1]
	v_add_u32_e32 v4, v4, v2
; %bb.1014:
	s_or_b64 exec, exec, s[8:9]
	s_mov_b64 s[0:1], 0
	global_store_byte v[5:6], v4, off
.LBB9_1015:
	s_mov_b64 s[8:9], 0
.LBB9_1016:
	s_and_b64 vcc, exec, s[8:9]
	s_cbranch_vccz .LBB9_1019
; %bb.1017:
	s_cmp_eq_u32 s17, 29
	s_mov_b64 s[0:1], -1
	s_cbranch_scc0 .LBB9_1019
; %bb.1018:
	v_trunc_f64_e32 v[2:3], v[0:1]
	s_movk_i32 s0, 0xffe0
	s_mov_b64 s[8:9], 0
	v_ldexp_f64 v[7:8], v[2:3], s0
	s_mov_b32 s0, 0
	s_mov_b32 s1, 0xc1f00000
	v_floor_f64_e32 v[7:8], v[7:8]
	v_fma_f64 v[2:3], v[7:8], s[0:1], v[2:3]
	v_cvt_u32_f64_e32 v4, v[7:8]
	s_mov_b64 s[0:1], 0
	v_cvt_u32_f64_e32 v3, v[2:3]
	global_store_dwordx2 v[5:6], v[3:4], off
	s_branch .LBB9_1020
.LBB9_1019:
	s_mov_b64 s[8:9], 0
.LBB9_1020:
	s_and_b64 vcc, exec, s[8:9]
	s_cbranch_vccz .LBB9_1035
; %bb.1021:
	s_cmp_lt_i32 s17, 27
	s_mov_b64 s[8:9], -1
	s_cbranch_scc1 .LBB9_1027
; %bb.1022:
	s_cmp_gt_i32 s17, 27
	s_cbranch_scc0 .LBB9_1024
; %bb.1023:
	v_cvt_u32_f64_e32 v2, v[0:1]
	s_mov_b64 s[8:9], 0
	global_store_dword v[5:6], v2, off
.LBB9_1024:
	s_andn2_b64 vcc, exec, s[8:9]
	s_cbranch_vccnz .LBB9_1026
; %bb.1025:
	v_cvt_u32_f64_e32 v2, v[0:1]
	global_store_short v[5:6], v2, off
.LBB9_1026:
	s_mov_b64 s[8:9], 0
.LBB9_1027:
	s_andn2_b64 vcc, exec, s[8:9]
	s_cbranch_vccnz .LBB9_1035
; %bb.1028:
	v_cvt_f32_f64_e32 v2, v[0:1]
	s_mov_b32 s8, 0x43800000
	v_mov_b32_e32 v4, 0x80
	v_and_b32_e32 v3, 0x7fffffff, v2
	v_cmp_gt_u32_e32 vcc, s8, v3
	s_and_saveexec_b64 s[8:9], vcc
	s_cbranch_execz .LBB9_1034
; %bb.1029:
	s_mov_b32 s10, 0x3bffffff
	v_cmp_lt_u32_e32 vcc, s10, v3
	s_mov_b64 s[10:11], 0
                                        ; implicit-def: $vgpr3
	s_and_saveexec_b64 s[12:13], vcc
	s_xor_b64 s[12:13], exec, s[12:13]
	s_cbranch_execz .LBB9_1188
; %bb.1030:
	v_bfe_u32 v3, v2, 20, 1
	s_mov_b32 s14, 0x487ffff
	v_add3_u32 v3, v2, v3, s14
	s_mov_b64 s[10:11], exec
	v_lshrrev_b32_e32 v3, 20, v3
	s_andn2_saveexec_b64 s[12:13], s[12:13]
	s_cbranch_execnz .LBB9_1189
.LBB9_1031:
	s_or_b64 exec, exec, s[12:13]
	v_mov_b32_e32 v4, 0
	s_and_saveexec_b64 s[12:13], s[10:11]
.LBB9_1032:
	v_lshrrev_b32_e32 v2, 24, v2
	s_movk_i32 s10, 0x80
	v_and_or_b32 v4, v2, s10, v3
.LBB9_1033:
	s_or_b64 exec, exec, s[12:13]
.LBB9_1034:
	s_or_b64 exec, exec, s[8:9]
	global_store_byte v[5:6], v4, off
.LBB9_1035:
	s_mov_b64 s[10:11], 0
.LBB9_1036:
	s_mov_b64 s[8:9], 0
	s_and_b64 vcc, exec, s[10:11]
	s_cbranch_vccz .LBB9_1076
; %bb.1037:
	s_cmp_gt_i32 s17, 22
	s_mov_b64 s[10:11], -1
	s_cbranch_scc0 .LBB9_1069
; %bb.1038:
	s_cmp_lt_i32 s17, 24
	s_cbranch_scc1 .LBB9_1058
; %bb.1039:
	s_cmp_gt_i32 s17, 24
	s_cbranch_scc0 .LBB9_1047
; %bb.1040:
	v_cvt_f32_f64_e32 v2, v[0:1]
	s_mov_b32 s10, 0x47800000
	v_mov_b32_e32 v4, 0x80
	v_and_b32_e32 v3, 0x7fffffff, v2
	v_cmp_gt_u32_e32 vcc, s10, v3
	s_and_saveexec_b64 s[10:11], vcc
	s_cbranch_execz .LBB9_1046
; %bb.1041:
	s_mov_b32 s12, 0x37ffffff
	v_cmp_lt_u32_e32 vcc, s12, v3
	s_mov_b64 s[12:13], 0
                                        ; implicit-def: $vgpr3
	s_and_saveexec_b64 s[14:15], vcc
	s_xor_b64 s[14:15], exec, s[14:15]
	s_cbranch_execz .LBB9_1321
; %bb.1042:
	v_bfe_u32 v3, v2, 21, 1
	s_mov_b32 s18, 0x88fffff
	v_add3_u32 v3, v2, v3, s18
	s_mov_b64 s[12:13], exec
	v_lshrrev_b32_e32 v3, 21, v3
	s_andn2_saveexec_b64 s[14:15], s[14:15]
	s_cbranch_execnz .LBB9_1322
.LBB9_1043:
	s_or_b64 exec, exec, s[14:15]
	v_mov_b32_e32 v4, 0
	s_and_saveexec_b64 s[14:15], s[12:13]
.LBB9_1044:
	v_lshrrev_b32_e32 v2, 24, v2
	s_movk_i32 s12, 0x80
	v_and_or_b32 v4, v2, s12, v3
.LBB9_1045:
	s_or_b64 exec, exec, s[14:15]
.LBB9_1046:
	s_or_b64 exec, exec, s[10:11]
	s_mov_b64 s[10:11], 0
	global_store_byte v[5:6], v4, off
.LBB9_1047:
	s_and_b64 vcc, exec, s[10:11]
	s_cbranch_vccz .LBB9_1057
; %bb.1048:
	v_cvt_f32_f64_e32 v2, v[0:1]
	s_mov_b32 s10, 0x43f00000
                                        ; implicit-def: $vgpr3
	v_and_b32_e32 v4, 0x7fffffff, v2
	v_cmp_gt_u32_e32 vcc, s10, v4
	s_and_saveexec_b64 s[10:11], vcc
	s_xor_b64 s[10:11], exec, s[10:11]
	s_cbranch_execz .LBB9_1054
; %bb.1049:
	s_mov_b32 s12, 0x3c7fffff
	v_cmp_lt_u32_e32 vcc, s12, v4
                                        ; implicit-def: $vgpr3
	s_and_saveexec_b64 s[12:13], vcc
	s_xor_b64 s[12:13], exec, s[12:13]
; %bb.1050:
	v_bfe_u32 v3, v2, 20, 1
	s_mov_b32 s14, 0x407ffff
	v_add3_u32 v3, v2, v3, s14
	v_lshrrev_b32_e32 v4, 20, v3
	v_and_b32_e32 v3, 0xff00000, v3
	s_mov_b32 s14, 0x7f00000
	v_mov_b32_e32 v7, 0x7e
	v_cmp_ne_u32_e32 vcc, s14, v3
	v_cndmask_b32_e32 v3, v7, v4, vcc
; %bb.1051:
	s_andn2_saveexec_b64 s[12:13], s[12:13]
; %bb.1052:
	s_mov_b32 s14, 0x46800000
	v_add_f32_e64 v3, |v2|, s14
; %bb.1053:
	s_or_b64 exec, exec, s[12:13]
                                        ; implicit-def: $vgpr4
.LBB9_1054:
	s_andn2_saveexec_b64 s[10:11], s[10:11]
; %bb.1055:
	s_mov_b32 s12, 0x7f800000
	v_mov_b32_e32 v3, 0x7e
	v_mov_b32_e32 v7, 0x7f
	v_cmp_lt_u32_e32 vcc, s12, v4
	v_cndmask_b32_e32 v3, v3, v7, vcc
; %bb.1056:
	s_or_b64 exec, exec, s[10:11]
	v_lshrrev_b32_e32 v2, 24, v2
	s_movk_i32 s10, 0x80
	v_and_or_b32 v2, v2, s10, v3
	global_store_byte v[5:6], v2, off
.LBB9_1057:
	s_mov_b64 s[10:11], 0
.LBB9_1058:
	s_andn2_b64 vcc, exec, s[10:11]
	s_cbranch_vccnz .LBB9_1068
; %bb.1059:
	v_cvt_f32_f64_e32 v2, v[0:1]
	s_mov_b32 s10, 0x47800000
                                        ; implicit-def: $vgpr3
	v_and_b32_e32 v4, 0x7fffffff, v2
	v_cmp_gt_u32_e32 vcc, s10, v4
	s_and_saveexec_b64 s[10:11], vcc
	s_xor_b64 s[10:11], exec, s[10:11]
	s_cbranch_execz .LBB9_1065
; %bb.1060:
	s_mov_b32 s12, 0x387fffff
	v_cmp_lt_u32_e32 vcc, s12, v4
                                        ; implicit-def: $vgpr3
	s_and_saveexec_b64 s[12:13], vcc
	s_xor_b64 s[12:13], exec, s[12:13]
; %bb.1061:
	v_bfe_u32 v3, v2, 21, 1
	s_mov_b32 s14, 0x80fffff
	v_add3_u32 v3, v2, v3, s14
	v_lshrrev_b32_e32 v3, 21, v3
; %bb.1062:
	s_andn2_saveexec_b64 s[12:13], s[12:13]
; %bb.1063:
	s_mov_b32 s14, 0x43000000
	v_add_f32_e64 v3, |v2|, s14
; %bb.1064:
	s_or_b64 exec, exec, s[12:13]
                                        ; implicit-def: $vgpr4
.LBB9_1065:
	s_andn2_saveexec_b64 s[10:11], s[10:11]
; %bb.1066:
	s_mov_b32 s12, 0x7f800000
	v_mov_b32_e32 v3, 0x7c
	v_mov_b32_e32 v7, 0x7f
	v_cmp_lt_u32_e32 vcc, s12, v4
	v_cndmask_b32_e32 v3, v3, v7, vcc
; %bb.1067:
	s_or_b64 exec, exec, s[10:11]
	v_lshrrev_b32_e32 v2, 24, v2
	s_movk_i32 s10, 0x80
	v_and_or_b32 v2, v2, s10, v3
	global_store_byte v[5:6], v2, off
.LBB9_1068:
	s_mov_b64 s[10:11], 0
.LBB9_1069:
	s_andn2_b64 vcc, exec, s[10:11]
	s_mov_b64 s[10:11], 0
	s_cbranch_vccnz .LBB9_1077
; %bb.1070:
	s_cmp_gt_i32 s17, 14
	s_mov_b64 s[12:13], -1
	s_cbranch_scc0 .LBB9_1074
; %bb.1071:
	s_cmp_eq_u32 s17, 15
	s_mov_b64 s[0:1], -1
	s_cbranch_scc0 .LBB9_1073
; %bb.1072:
	v_cvt_f32_f64_e32 v2, v[0:1]
	s_movk_i32 s0, 0x7fff
	v_mov_b32_e32 v3, 0x7fc0
	v_bfe_u32 v4, v2, 16, 1
	v_cmp_o_f32_e32 vcc, v2, v2
	v_add3_u32 v2, v2, v4, s0
	v_cndmask_b32_sdwa v2, v3, v2, vcc dst_sel:DWORD dst_unused:UNUSED_PAD src0_sel:DWORD src1_sel:WORD_1
	global_store_short v[5:6], v2, off
	s_mov_b64 s[0:1], 0
.LBB9_1073:
	s_mov_b64 s[12:13], 0
.LBB9_1074:
	s_and_b64 vcc, exec, s[12:13]
	s_cbranch_vccz .LBB9_1077
; %bb.1075:
	s_cmp_lg_u32 s17, 11
	s_cselect_b64 s[12:13], -1, 0
	s_andn2_b64 s[0:1], s[0:1], exec
	s_and_b64 s[12:13], s[12:13], exec
	s_mov_b64 s[10:11], -1
	s_or_b64 s[0:1], s[0:1], s[12:13]
	s_branch .LBB9_1077
.LBB9_1076:
	s_mov_b64 s[10:11], 0
.LBB9_1077:
	s_andn2_b64 s[12:13], s[52:53], exec
	s_and_b64 s[0:1], s[0:1], exec
	s_and_b64 s[8:9], s[8:9], exec
	;; [unrolled: 1-line block ×3, first 2 shown]
	s_or_b64 s[52:53], s[12:13], s[0:1]
	s_or_b64 exec, exec, s[6:7]
	s_and_saveexec_b64 s[0:1], s[52:53]
	s_cbranch_execz .LBB9_1006
.LBB9_1078:
	s_or_b64 s[2:3], s[2:3], exec
	s_andn2_b64 s[10:11], s[10:11], exec
	s_trap 2
	s_or_b64 exec, exec, s[0:1]
	s_and_saveexec_b64 s[0:1], s[10:11]
	s_xor_b64 s[0:1], exec, s[0:1]
	s_cbranch_execnz .LBB9_1007
.LBB9_1079:
	s_or_b64 exec, exec, s[0:1]
	s_and_saveexec_b64 s[0:1], s[8:9]
	s_xor_b64 s[0:1], exec, s[0:1]
	s_cbranch_execz .LBB9_1117
.LBB9_1080:
	s_sext_i32_i16 s8, s16
	s_cmp_lt_i32 s8, 5
	s_mov_b64 s[6:7], -1
	s_cbranch_scc1 .LBB9_1101
; %bb.1081:
	s_cmp_lt_i32 s8, 8
	s_cbranch_scc1 .LBB9_1091
; %bb.1082:
	s_cmp_lt_i32 s8, 9
	s_cbranch_scc1 .LBB9_1088
; %bb.1083:
	s_cmp_gt_i32 s8, 9
	s_cbranch_scc0 .LBB9_1085
; %bb.1084:
	v_mov_b32_e32 v2, 0
	s_waitcnt vmcnt(0)
	v_mov_b32_e32 v3, v2
	s_mov_b64 s[6:7], 0
	global_store_dwordx4 v[5:6], v[0:3], off
.LBB9_1085:
	s_andn2_b64 vcc, exec, s[6:7]
	s_cbranch_vccnz .LBB9_1087
; %bb.1086:
	v_cvt_f32_f64_e32 v2, v[0:1]
	s_waitcnt vmcnt(0)
	v_mov_b32_e32 v3, 0
	global_store_dwordx2 v[5:6], v[2:3], off
.LBB9_1087:
	s_mov_b64 s[6:7], 0
.LBB9_1088:
	s_andn2_b64 vcc, exec, s[6:7]
	s_cbranch_vccnz .LBB9_1090
; %bb.1089:
	s_movk_i32 s6, 0x1ff
	v_and_or_b32 v2, v1, s6, v0
	v_cmp_ne_u32_e32 vcc, 0, v2
	v_cndmask_b32_e64 v2, 0, 1, vcc
	s_waitcnt vmcnt(0)
	v_lshrrev_b32_e32 v3, 8, v1
	s_movk_i32 s6, 0xffe
	v_bfe_u32 v4, v1, 20, 11
	v_and_or_b32 v2, v3, s6, v2
	v_sub_u32_e32 v7, 0x3f1, v4
	v_or_b32_e32 v3, 0x1000, v2
	v_med3_i32 v7, v7, 0, 13
	v_lshrrev_b32_e32 v8, v7, v3
	v_lshlrev_b32_e32 v7, v7, v8
	v_cmp_ne_u32_e32 vcc, v7, v3
	v_cndmask_b32_e64 v3, 0, 1, vcc
	v_add_u32_e32 v4, 0xfffffc10, v4
	v_or_b32_e32 v3, v8, v3
	v_lshl_or_b32 v7, v4, 12, v2
	v_cmp_gt_i32_e32 vcc, 1, v4
	v_cndmask_b32_e32 v3, v7, v3, vcc
	v_and_b32_e32 v7, 7, v3
	v_cmp_lt_i32_e32 vcc, 5, v7
	v_cndmask_b32_e64 v8, 0, 1, vcc
	v_cmp_eq_u32_e32 vcc, 3, v7
	v_cndmask_b32_e64 v7, 0, 1, vcc
	v_or_b32_e32 v7, v7, v8
	v_lshrrev_b32_e32 v3, 2, v3
	v_add_u32_e32 v3, v3, v7
	v_mov_b32_e32 v7, 0x7c00
	v_cmp_gt_i32_e32 vcc, 31, v4
	v_cndmask_b32_e32 v3, v7, v3, vcc
	v_mov_b32_e32 v8, 0x7e00
	v_cmp_ne_u32_e32 vcc, 0, v2
	s_movk_i32 s6, 0x40f
	v_cndmask_b32_e32 v2, v7, v8, vcc
	v_cmp_eq_u32_e32 vcc, s6, v4
	v_cndmask_b32_e32 v2, v3, v2, vcc
	v_lshrrev_b32_e32 v3, 16, v1
	s_mov_b32 s6, 0x8000
	v_and_or_b32 v2, v3, s6, v2
	v_and_b32_e32 v2, 0xffff, v2
	global_store_dword v[5:6], v2, off
.LBB9_1090:
	s_mov_b64 s[6:7], 0
.LBB9_1091:
	s_andn2_b64 vcc, exec, s[6:7]
	s_cbranch_vccnz .LBB9_1100
; %bb.1092:
	s_sext_i32_i16 s8, s16
	s_cmp_lt_i32 s8, 6
	s_mov_b64 s[6:7], -1
	s_cbranch_scc1 .LBB9_1098
; %bb.1093:
	s_cmp_gt_i32 s8, 6
	s_cbranch_scc0 .LBB9_1095
; %bb.1094:
	s_mov_b64 s[6:7], 0
	global_store_dwordx2 v[5:6], v[0:1], off
.LBB9_1095:
	s_andn2_b64 vcc, exec, s[6:7]
	s_cbranch_vccnz .LBB9_1097
; %bb.1096:
	v_cvt_f32_f64_e32 v2, v[0:1]
	global_store_dword v[5:6], v2, off
.LBB9_1097:
	s_mov_b64 s[6:7], 0
.LBB9_1098:
	s_andn2_b64 vcc, exec, s[6:7]
	s_cbranch_vccnz .LBB9_1100
; %bb.1099:
	s_movk_i32 s6, 0x1ff
	v_and_or_b32 v2, v1, s6, v0
	v_cmp_ne_u32_e32 vcc, 0, v2
	v_cndmask_b32_e64 v2, 0, 1, vcc
	s_waitcnt vmcnt(0)
	v_lshrrev_b32_e32 v3, 8, v1
	s_movk_i32 s6, 0xffe
	v_bfe_u32 v4, v1, 20, 11
	v_and_or_b32 v2, v3, s6, v2
	v_sub_u32_e32 v7, 0x3f1, v4
	v_or_b32_e32 v3, 0x1000, v2
	v_med3_i32 v7, v7, 0, 13
	v_lshrrev_b32_e32 v8, v7, v3
	v_lshlrev_b32_e32 v7, v7, v8
	v_cmp_ne_u32_e32 vcc, v7, v3
	v_cndmask_b32_e64 v3, 0, 1, vcc
	v_add_u32_e32 v4, 0xfffffc10, v4
	v_or_b32_e32 v3, v8, v3
	v_lshl_or_b32 v7, v4, 12, v2
	v_cmp_gt_i32_e32 vcc, 1, v4
	v_cndmask_b32_e32 v3, v7, v3, vcc
	v_and_b32_e32 v7, 7, v3
	v_cmp_lt_i32_e32 vcc, 5, v7
	v_cndmask_b32_e64 v8, 0, 1, vcc
	v_cmp_eq_u32_e32 vcc, 3, v7
	v_cndmask_b32_e64 v7, 0, 1, vcc
	v_or_b32_e32 v7, v7, v8
	v_lshrrev_b32_e32 v3, 2, v3
	v_add_u32_e32 v3, v3, v7
	v_mov_b32_e32 v7, 0x7c00
	v_cmp_gt_i32_e32 vcc, 31, v4
	v_cndmask_b32_e32 v3, v7, v3, vcc
	v_mov_b32_e32 v8, 0x7e00
	v_cmp_ne_u32_e32 vcc, 0, v2
	s_movk_i32 s6, 0x40f
	v_cndmask_b32_e32 v2, v7, v8, vcc
	v_cmp_eq_u32_e32 vcc, s6, v4
	v_cndmask_b32_e32 v2, v3, v2, vcc
	v_lshrrev_b32_e32 v3, 16, v1
	s_mov_b32 s6, 0x8000
	v_and_or_b32 v2, v3, s6, v2
	global_store_short v[5:6], v2, off
.LBB9_1100:
	s_mov_b64 s[6:7], 0
.LBB9_1101:
	s_andn2_b64 vcc, exec, s[6:7]
	s_cbranch_vccnz .LBB9_1117
; %bb.1102:
	s_sext_i32_i16 s8, s16
	s_cmp_lt_i32 s8, 2
	s_mov_b64 s[6:7], -1
	s_cbranch_scc1 .LBB9_1112
; %bb.1103:
	s_cmp_lt_i32 s8, 3
	s_cbranch_scc1 .LBB9_1109
; %bb.1104:
	s_cmp_gt_i32 s8, 3
	s_cbranch_scc0 .LBB9_1106
; %bb.1105:
	s_waitcnt vmcnt(0)
	v_trunc_f64_e32 v[2:3], v[0:1]
	s_movk_i32 s6, 0xffe0
	v_ldexp_f64 v[7:8], v[2:3], s6
	s_mov_b32 s6, 0
	s_mov_b32 s7, 0xc1f00000
	v_floor_f64_e32 v[7:8], v[7:8]
	v_fma_f64 v[2:3], v[7:8], s[6:7], v[2:3]
	v_cvt_i32_f64_e32 v4, v[7:8]
	s_mov_b64 s[6:7], 0
	v_cvt_u32_f64_e32 v3, v[2:3]
	global_store_dwordx2 v[5:6], v[3:4], off
.LBB9_1106:
	s_andn2_b64 vcc, exec, s[6:7]
	s_cbranch_vccnz .LBB9_1108
; %bb.1107:
	v_cvt_i32_f64_e32 v2, v[0:1]
	global_store_dword v[5:6], v2, off
.LBB9_1108:
	s_mov_b64 s[6:7], 0
.LBB9_1109:
	s_andn2_b64 vcc, exec, s[6:7]
	s_cbranch_vccnz .LBB9_1111
; %bb.1110:
	v_cvt_i32_f64_e32 v2, v[0:1]
	global_store_short v[5:6], v2, off
.LBB9_1111:
	s_mov_b64 s[6:7], 0
.LBB9_1112:
	s_andn2_b64 vcc, exec, s[6:7]
	s_cbranch_vccnz .LBB9_1117
; %bb.1113:
	s_sext_i32_i16 s6, s16
	s_cmp_gt_i32 s6, 0
	s_mov_b64 s[6:7], -1
	s_cbranch_scc0 .LBB9_1115
; %bb.1114:
	v_cvt_i32_f64_e32 v2, v[0:1]
	s_mov_b64 s[6:7], 0
	global_store_byte v[5:6], v2, off
.LBB9_1115:
	s_andn2_b64 vcc, exec, s[6:7]
	s_cbranch_vccnz .LBB9_1117
; %bb.1116:
	v_trunc_f64_e32 v[0:1], v[0:1]
	s_movk_i32 s6, 0xffe0
	s_waitcnt vmcnt(0)
	v_ldexp_f64 v[2:3], v[0:1], s6
	s_mov_b32 s6, 0
	s_mov_b32 s7, 0xc1f00000
	v_floor_f64_e32 v[2:3], v[2:3]
	v_fma_f64 v[0:1], v[2:3], s[6:7], v[0:1]
	v_cvt_u32_f64_e32 v0, v[0:1]
	global_store_byte v[5:6], v0, off
.LBB9_1117:
	s_or_b64 exec, exec, s[0:1]
	s_and_b64 s[6:7], s[2:3], exec
                                        ; implicit-def: $vgpr5
                                        ; implicit-def: $vgpr11
.LBB9_1118:
	s_or_saveexec_b64 s[28:29], s[44:45]
	s_mov_b64 s[0:1], 0
                                        ; implicit-def: $vgpr0_vgpr1
                                        ; implicit-def: $sgpr16
                                        ; implicit-def: $vgpr12_vgpr13
	s_xor_b64 exec, exec, s[28:29]
	s_cbranch_execz .LBB9_1800
; %bb.1119:
	v_cndmask_b32_e64 v0, 0, 1, s[42:43]
	v_cmp_ne_u32_e64 s[0:1], 1, v0
	s_andn2_b64 vcc, exec, s[42:43]
	s_cbranch_vccnz .LBB9_1125
; %bb.1120:
	s_cmp_lg_u32 s33, 0
	s_mov_b32 s36, 0
	s_cbranch_scc0 .LBB9_1126
; %bb.1121:
	s_min_u32 s37, s72, 15
	s_add_i32 s37, s37, 1
	s_cmp_eq_u32 s72, 2
	s_cbranch_scc1 .LBB9_1127
; %bb.1122:
	s_and_b32 s36, s37, 28
	s_add_u32 s2, s34, 0xc4
	s_addc_u32 s3, s35, 0
	v_mov_b32_e32 v0, 0
	s_mov_b32 s38, 0
	s_mov_b64 s[30:31], s[34:35]
	v_mov_b32_e32 v2, 0
	v_mov_b32_e32 v1, v11
.LBB9_1123:                             ; =>This Inner Loop Header: Depth=1
	s_load_dwordx8 s[16:23], s[30:31], 0x4
	s_load_dwordx4 s[24:27], s[30:31], 0x24
	s_load_dwordx8 s[8:15], s[2:3], 0x0
	s_add_u32 s30, s30, 48
	s_addc_u32 s31, s31, 0
	s_waitcnt vmcnt(0) lgkmcnt(0)
	v_mul_hi_u32 v3, s17, v1
	s_add_i32 s38, s38, 4
	s_add_u32 s2, s2, 32
	s_addc_u32 s3, s3, 0
	v_add_u32_e32 v3, v1, v3
	v_lshrrev_b32_e32 v3, s18, v3
	v_mul_lo_u32 v4, v3, s16
	v_mul_hi_u32 v6, s20, v3
	s_cmp_lg_u32 s36, s38
	v_sub_u32_e32 v1, v1, v4
	v_add_u32_e32 v4, v3, v6
	v_mul_lo_u32 v6, v1, s8
	v_mul_lo_u32 v7, v1, s9
	v_lshrrev_b32_e32 v1, s21, v4
	v_mul_lo_u32 v4, v1, s19
	v_mul_hi_u32 v8, s23, v1
	v_sub_u32_e32 v3, v3, v4
	v_add_u32_e32 v4, v1, v8
	v_lshrrev_b32_e32 v4, s24, v4
	v_mul_hi_u32 v9, s26, v4
	v_mul_lo_u32 v10, v4, s22
	v_mul_lo_u32 v8, v3, s10
	;; [unrolled: 1-line block ×3, first 2 shown]
	v_sub_u32_e32 v10, v1, v10
	v_add_u32_e32 v1, v4, v9
	v_lshrrev_b32_e32 v1, s27, v1
	v_mul_lo_u32 v9, v1, s25
	v_mul_lo_u32 v12, v10, s12
	;; [unrolled: 1-line block ×3, first 2 shown]
	v_add3_u32 v2, v6, v2, v8
	v_sub_u32_e32 v4, v4, v9
	v_mul_lo_u32 v9, v4, s14
	v_mul_lo_u32 v4, v4, s15
	v_add3_u32 v0, v7, v0, v3
	v_add3_u32 v2, v12, v2, v9
	;; [unrolled: 1-line block ×3, first 2 shown]
	s_cbranch_scc1 .LBB9_1123
; %bb.1124:
	s_and_b32 s10, s37, 3
	s_cmp_eq_u32 s10, 0
	s_cbranch_scc0 .LBB9_1128
	s_branch .LBB9_1130
.LBB9_1125:
                                        ; implicit-def: $vgpr2
                                        ; implicit-def: $vgpr0
	s_branch .LBB9_1131
.LBB9_1126:
	v_mov_b32_e32 v2, 0
	v_mov_b32_e32 v0, 0
	s_branch .LBB9_1130
.LBB9_1127:
	v_mov_b32_e32 v2, 0
	v_mov_b32_e32 v0, 0
	;; [unrolled: 1-line block ×3, first 2 shown]
	s_and_b32 s10, s37, 3
	s_cmp_eq_u32 s10, 0
	s_cbranch_scc1 .LBB9_1130
.LBB9_1128:
	s_lshl_b32 s2, s36, 3
	s_add_u32 s2, s34, s2
	s_addc_u32 s3, s35, 0
	s_add_u32 s2, s2, 0xc4
	s_addc_u32 s3, s3, 0
	s_mul_i32 s8, s36, 12
	s_add_u32 s8, s34, s8
	s_addc_u32 s9, s35, 0
.LBB9_1129:                             ; =>This Inner Loop Header: Depth=1
	s_load_dwordx2 s[12:13], s[8:9], 0x4
	s_load_dword s11, s[8:9], 0xc
	s_load_dwordx2 s[14:15], s[2:3], 0x0
	s_add_u32 s8, s8, 12
	s_addc_u32 s9, s9, 0
	s_waitcnt vmcnt(0) lgkmcnt(0)
	v_mul_hi_u32 v3, s13, v1
	s_add_u32 s2, s2, 8
	s_addc_u32 s3, s3, 0
	s_add_i32 s10, s10, -1
	v_add_u32_e32 v3, v1, v3
	v_lshrrev_b32_e32 v4, s11, v3
	v_mul_lo_u32 v3, v4, s12
	s_cmp_lg_u32 s10, 0
	v_sub_u32_e32 v1, v1, v3
	v_mad_u64_u32 v[2:3], s[12:13], v1, s14, v[2:3]
	v_mad_u64_u32 v[0:1], s[12:13], v1, s15, v[0:1]
	v_mov_b32_e32 v1, v4
	s_cbranch_scc1 .LBB9_1129
.LBB9_1130:
	s_cbranch_execnz .LBB9_1133
.LBB9_1131:
	s_load_dwordx4 s[8:11], s[34:35], 0x4
	s_load_dwordx2 s[2:3], s[34:35], 0xc4
	s_cmp_lt_u32 s33, 2
	s_waitcnt lgkmcnt(0)
	v_mul_hi_u32 v0, s9, v11
	v_add_u32_e32 v0, v11, v0
	v_lshrrev_b32_e32 v1, s10, v0
	v_mul_lo_u32 v0, v1, s8
	v_sub_u32_e32 v0, v11, v0
	v_mul_lo_u32 v2, v0, s2
	v_mul_lo_u32 v0, v0, s3
	s_cbranch_scc1 .LBB9_1133
; %bb.1132:
	s_load_dwordx4 s[8:11], s[34:35], 0x10
	s_load_dwordx2 s[2:3], s[34:35], 0xcc
	s_waitcnt vmcnt(0) lgkmcnt(0)
	v_mul_hi_u32 v3, s9, v1
	v_add_u32_e32 v3, v1, v3
	v_lshrrev_b32_e32 v3, s10, v3
	v_mul_lo_u32 v3, v3, s8
	v_sub_u32_e32 v1, v1, v3
	v_mad_u64_u32 v[2:3], s[8:9], v1, s2, v[2:3]
	v_mad_u64_u32 v[0:1], s[2:3], v1, s3, v[0:1]
.LBB9_1133:
	s_and_b64 vcc, exec, s[0:1]
	v_add_u32_e32 v1, 0x80, v11
	s_cbranch_vccnz .LBB9_1139
; %bb.1134:
	s_cmp_lg_u32 s33, 0
	s_mov_b32 s36, 0
	s_cbranch_scc0 .LBB9_1140
; %bb.1135:
	s_min_u32 s37, s72, 15
	s_add_i32 s37, s37, 1
	s_cmp_eq_u32 s72, 2
	s_cbranch_scc1 .LBB9_1141
; %bb.1136:
	s_and_b32 s36, s37, 28
	s_add_u32 s2, s34, 0xc4
	s_addc_u32 s3, s35, 0
	v_mov_b32_e32 v9, 0
	s_mov_b32 s38, 0
	s_mov_b64 s[30:31], s[34:35]
	v_mov_b32_e32 v6, 0
	s_waitcnt vmcnt(0)
	v_mov_b32_e32 v3, v1
.LBB9_1137:                             ; =>This Inner Loop Header: Depth=1
	s_load_dwordx8 s[16:23], s[30:31], 0x4
	s_load_dwordx4 s[24:27], s[30:31], 0x24
	s_load_dwordx8 s[8:15], s[2:3], 0x0
	s_add_u32 s30, s30, 48
	s_addc_u32 s31, s31, 0
	s_waitcnt lgkmcnt(0)
	v_mul_hi_u32 v4, s17, v3
	s_add_i32 s38, s38, 4
	s_add_u32 s2, s2, 32
	s_addc_u32 s3, s3, 0
	v_add_u32_e32 v4, v3, v4
	v_lshrrev_b32_e32 v4, s18, v4
	v_mul_lo_u32 v7, v4, s16
	v_mul_hi_u32 v8, s20, v4
	s_cmp_lg_u32 s36, s38
	v_sub_u32_e32 v3, v3, v7
	v_add_u32_e32 v7, v4, v8
	v_mul_lo_u32 v8, v3, s8
	v_mul_lo_u32 v10, v3, s9
	v_lshrrev_b32_e32 v3, s21, v7
	v_mul_lo_u32 v7, v3, s19
	v_mul_hi_u32 v12, s23, v3
	v_sub_u32_e32 v4, v4, v7
	v_add_u32_e32 v7, v3, v12
	v_lshrrev_b32_e32 v7, s24, v7
	v_mul_hi_u32 v13, s26, v7
	v_mul_lo_u32 v14, v7, s22
	v_mul_lo_u32 v12, v4, s10
	;; [unrolled: 1-line block ×3, first 2 shown]
	v_sub_u32_e32 v14, v3, v14
	v_add_u32_e32 v3, v7, v13
	v_lshrrev_b32_e32 v3, s27, v3
	v_mul_lo_u32 v13, v3, s25
	v_mul_lo_u32 v15, v14, s12
	;; [unrolled: 1-line block ×3, first 2 shown]
	v_add3_u32 v6, v8, v6, v12
	v_sub_u32_e32 v7, v7, v13
	v_mul_lo_u32 v13, v7, s14
	v_mul_lo_u32 v7, v7, s15
	v_add3_u32 v4, v10, v9, v4
	v_add3_u32 v6, v15, v6, v13
	;; [unrolled: 1-line block ×3, first 2 shown]
	s_cbranch_scc1 .LBB9_1137
; %bb.1138:
	s_and_b32 s10, s37, 3
	s_cmp_eq_u32 s10, 0
	s_cbranch_scc0 .LBB9_1142
	s_branch .LBB9_1144
.LBB9_1139:
                                        ; implicit-def: $vgpr6
                                        ; implicit-def: $vgpr9
	s_branch .LBB9_1145
.LBB9_1140:
	v_mov_b32_e32 v6, 0
	v_mov_b32_e32 v9, 0
	s_branch .LBB9_1144
.LBB9_1141:
	v_mov_b32_e32 v6, 0
	v_mov_b32_e32 v9, 0
	s_waitcnt vmcnt(0)
	v_mov_b32_e32 v3, v1
	s_and_b32 s10, s37, 3
	s_cmp_eq_u32 s10, 0
	s_cbranch_scc1 .LBB9_1144
.LBB9_1142:
	s_lshl_b32 s2, s36, 3
	s_add_u32 s2, s34, s2
	s_addc_u32 s3, s35, 0
	s_add_u32 s2, s2, 0xc4
	s_addc_u32 s3, s3, 0
	s_mul_i32 s8, s36, 12
	s_add_u32 s8, s34, s8
	s_addc_u32 s9, s35, 0
.LBB9_1143:                             ; =>This Inner Loop Header: Depth=1
	s_load_dwordx2 s[12:13], s[8:9], 0x4
	s_load_dword s11, s[8:9], 0xc
	s_load_dwordx2 s[14:15], s[2:3], 0x0
	s_add_u32 s8, s8, 12
	s_addc_u32 s9, s9, 0
	s_waitcnt lgkmcnt(0)
	v_mul_hi_u32 v4, s13, v3
	s_add_u32 s2, s2, 8
	s_addc_u32 s3, s3, 0
	s_add_i32 s10, s10, -1
	v_add_u32_e32 v4, v3, v4
	v_lshrrev_b32_e32 v4, s11, v4
	v_mul_lo_u32 v7, v4, s12
	s_cmp_lg_u32 s10, 0
	v_sub_u32_e32 v3, v3, v7
	v_mad_u64_u32 v[6:7], s[12:13], v3, s14, v[6:7]
	v_mad_u64_u32 v[9:10], s[12:13], v3, s15, v[9:10]
	v_mov_b32_e32 v3, v4
	s_cbranch_scc1 .LBB9_1143
.LBB9_1144:
	s_cbranch_execnz .LBB9_1147
.LBB9_1145:
	s_load_dwordx4 s[8:11], s[34:35], 0x4
	s_load_dwordx2 s[2:3], s[34:35], 0xc4
	s_cmp_lt_u32 s33, 2
	s_waitcnt vmcnt(0) lgkmcnt(0)
	v_mul_hi_u32 v3, s9, v1
	v_add_u32_e32 v3, v1, v3
	v_lshrrev_b32_e32 v3, s10, v3
	v_mul_lo_u32 v4, v3, s8
	v_sub_u32_e32 v1, v1, v4
	v_mul_lo_u32 v6, v1, s2
	v_mul_lo_u32 v9, v1, s3
	s_cbranch_scc1 .LBB9_1147
; %bb.1146:
	s_load_dwordx4 s[8:11], s[34:35], 0x10
	s_load_dwordx2 s[2:3], s[34:35], 0xcc
	s_waitcnt lgkmcnt(0)
	v_mul_hi_u32 v1, s9, v3
	v_add_u32_e32 v1, v3, v1
	v_lshrrev_b32_e32 v1, s10, v1
	v_mul_lo_u32 v1, v1, s8
	v_sub_u32_e32 v1, v3, v1
	v_mad_u64_u32 v[6:7], s[8:9], v1, s2, v[6:7]
	v_mad_u64_u32 v[9:10], s[2:3], v1, s3, v[9:10]
.LBB9_1147:
	s_and_b64 vcc, exec, s[0:1]
	v_add_u32_e32 v1, 0x100, v11
	s_cbranch_vccnz .LBB9_1153
; %bb.1148:
	s_cmp_lg_u32 s33, 0
	s_mov_b32 s36, 0
	s_cbranch_scc0 .LBB9_1154
; %bb.1149:
	s_min_u32 s37, s72, 15
	s_add_i32 s37, s37, 1
	s_cmp_eq_u32 s72, 2
	s_cbranch_scc1 .LBB9_1155
; %bb.1150:
	s_and_b32 s36, s37, 28
	s_add_u32 s2, s34, 0xc4
	s_addc_u32 s3, s35, 0
	v_mov_b32_e32 v7, 0
	s_mov_b32 s38, 0
	s_mov_b64 s[30:31], s[34:35]
	v_mov_b32_e32 v10, 0
	s_waitcnt vmcnt(0)
	v_mov_b32_e32 v3, v1
.LBB9_1151:                             ; =>This Inner Loop Header: Depth=1
	s_load_dwordx8 s[16:23], s[30:31], 0x4
	s_load_dwordx4 s[24:27], s[30:31], 0x24
	s_load_dwordx8 s[8:15], s[2:3], 0x0
	s_add_u32 s30, s30, 48
	s_addc_u32 s31, s31, 0
	s_waitcnt lgkmcnt(0)
	v_mul_hi_u32 v4, s17, v3
	s_add_i32 s38, s38, 4
	s_add_u32 s2, s2, 32
	s_addc_u32 s3, s3, 0
	v_add_u32_e32 v4, v3, v4
	v_lshrrev_b32_e32 v4, s18, v4
	v_mul_lo_u32 v8, v4, s16
	v_mul_hi_u32 v11, s20, v4
	s_cmp_lg_u32 s36, s38
	v_sub_u32_e32 v3, v3, v8
	v_add_u32_e32 v8, v4, v11
	v_mul_lo_u32 v11, v3, s8
	v_mul_lo_u32 v12, v3, s9
	v_lshrrev_b32_e32 v3, s21, v8
	v_mul_lo_u32 v8, v3, s19
	v_mul_hi_u32 v13, s23, v3
	v_sub_u32_e32 v4, v4, v8
	v_add_u32_e32 v8, v3, v13
	v_lshrrev_b32_e32 v8, s24, v8
	v_mul_hi_u32 v14, s26, v8
	v_mul_lo_u32 v15, v8, s22
	v_mul_lo_u32 v13, v4, s10
	;; [unrolled: 1-line block ×3, first 2 shown]
	v_sub_u32_e32 v15, v3, v15
	v_add_u32_e32 v3, v8, v14
	v_lshrrev_b32_e32 v3, s27, v3
	v_mul_lo_u32 v14, v3, s25
	v_mul_lo_u32 v16, v15, s12
	;; [unrolled: 1-line block ×3, first 2 shown]
	v_add3_u32 v10, v11, v10, v13
	v_sub_u32_e32 v8, v8, v14
	v_mul_lo_u32 v14, v8, s14
	v_mul_lo_u32 v8, v8, s15
	v_add3_u32 v4, v12, v7, v4
	v_add3_u32 v10, v16, v10, v14
	v_add3_u32 v7, v15, v4, v8
	s_cbranch_scc1 .LBB9_1151
; %bb.1152:
	s_and_b32 s10, s37, 3
	s_cmp_eq_u32 s10, 0
	s_cbranch_scc0 .LBB9_1156
	s_branch .LBB9_1158
.LBB9_1153:
                                        ; implicit-def: $vgpr10
                                        ; implicit-def: $vgpr7
	s_branch .LBB9_1159
.LBB9_1154:
	v_mov_b32_e32 v10, 0
	v_mov_b32_e32 v7, 0
	s_branch .LBB9_1158
.LBB9_1155:
	v_mov_b32_e32 v10, 0
	v_mov_b32_e32 v7, 0
	s_waitcnt vmcnt(0)
	v_mov_b32_e32 v3, v1
	s_and_b32 s10, s37, 3
	s_cmp_eq_u32 s10, 0
	s_cbranch_scc1 .LBB9_1158
.LBB9_1156:
	s_lshl_b32 s2, s36, 3
	s_add_u32 s2, s34, s2
	s_addc_u32 s3, s35, 0
	s_add_u32 s2, s2, 0xc4
	s_addc_u32 s3, s3, 0
	s_mul_i32 s8, s36, 12
	s_add_u32 s8, s34, s8
	s_addc_u32 s9, s35, 0
.LBB9_1157:                             ; =>This Inner Loop Header: Depth=1
	s_load_dwordx2 s[12:13], s[8:9], 0x4
	s_load_dword s11, s[8:9], 0xc
	s_load_dwordx2 s[14:15], s[2:3], 0x0
	s_add_u32 s8, s8, 12
	s_addc_u32 s9, s9, 0
	s_waitcnt lgkmcnt(0)
	v_mul_hi_u32 v4, s13, v3
	s_add_u32 s2, s2, 8
	s_addc_u32 s3, s3, 0
	s_add_i32 s10, s10, -1
	v_add_u32_e32 v4, v3, v4
	v_lshrrev_b32_e32 v4, s11, v4
	v_mul_lo_u32 v8, v4, s12
	s_cmp_lg_u32 s10, 0
	v_sub_u32_e32 v3, v3, v8
	v_mad_u64_u32 v[10:11], s[12:13], v3, s14, v[10:11]
	v_mad_u64_u32 v[7:8], s[12:13], v3, s15, v[7:8]
	v_mov_b32_e32 v3, v4
	s_cbranch_scc1 .LBB9_1157
.LBB9_1158:
	s_cbranch_execnz .LBB9_1161
.LBB9_1159:
	s_load_dwordx4 s[8:11], s[34:35], 0x4
	s_load_dwordx2 s[2:3], s[34:35], 0xc4
	s_cmp_lt_u32 s33, 2
	s_waitcnt vmcnt(0) lgkmcnt(0)
	v_mul_hi_u32 v3, s9, v1
	v_add_u32_e32 v3, v1, v3
	v_lshrrev_b32_e32 v3, s10, v3
	v_mul_lo_u32 v4, v3, s8
	v_sub_u32_e32 v1, v1, v4
	v_mul_lo_u32 v10, v1, s2
	v_mul_lo_u32 v7, v1, s3
	s_cbranch_scc1 .LBB9_1161
; %bb.1160:
	s_load_dwordx4 s[8:11], s[34:35], 0x10
	s_load_dwordx2 s[2:3], s[34:35], 0xcc
	s_waitcnt lgkmcnt(0)
	v_mul_hi_u32 v1, s9, v3
	v_add_u32_e32 v1, v3, v1
	v_lshrrev_b32_e32 v1, s10, v1
	v_mul_lo_u32 v1, v1, s8
	v_sub_u32_e32 v1, v3, v1
	v_mad_u64_u32 v[10:11], s[8:9], v1, s2, v[10:11]
	v_mad_u64_u32 v[7:8], s[2:3], v1, s3, v[7:8]
.LBB9_1161:
	s_and_b64 vcc, exec, s[0:1]
	s_cbranch_vccnz .LBB9_1167
; %bb.1162:
	s_cmp_lg_u32 s33, 0
	s_mov_b32 s30, 0
	s_cbranch_scc0 .LBB9_1168
; %bb.1163:
	s_min_u32 s31, s72, 15
	s_add_i32 s31, s31, 1
	s_cmp_eq_u32 s72, 2
	s_cbranch_scc1 .LBB9_1169
; %bb.1164:
	s_and_b32 s30, s31, 28
	s_add_u32 s24, s34, 0xc4
	s_addc_u32 s25, s35, 0
	s_waitcnt vmcnt(0)
	v_mov_b32_e32 v3, 0
	s_mov_b32 s36, 0
	s_mov_b64 s[26:27], s[34:35]
	v_mov_b32_e32 v14, 0
	v_mov_b32_e32 v1, v5
.LBB9_1165:                             ; =>This Inner Loop Header: Depth=1
	s_load_dwordx8 s[16:23], s[26:27], 0x4
	s_load_dwordx4 s[0:3], s[26:27], 0x24
	s_load_dwordx8 s[8:15], s[24:25], 0x0
	s_add_u32 s26, s26, 48
	s_addc_u32 s27, s27, 0
	s_waitcnt lgkmcnt(0)
	v_mul_hi_u32 v4, s17, v1
	s_add_i32 s36, s36, 4
	s_add_u32 s24, s24, 32
	s_addc_u32 s25, s25, 0
	v_add_u32_e32 v4, v1, v4
	v_lshrrev_b32_e32 v4, s18, v4
	v_mul_lo_u32 v8, v4, s16
	v_mul_hi_u32 v11, s20, v4
	s_cmp_lg_u32 s30, s36
	v_sub_u32_e32 v1, v1, v8
	v_add_u32_e32 v8, v4, v11
	v_mul_lo_u32 v11, v1, s8
	v_mul_lo_u32 v12, v1, s9
	v_lshrrev_b32_e32 v1, s21, v8
	v_mul_lo_u32 v8, v1, s19
	v_mul_hi_u32 v13, s23, v1
	v_sub_u32_e32 v4, v4, v8
	v_add_u32_e32 v8, v1, v13
	v_lshrrev_b32_e32 v8, s0, v8
	v_mul_hi_u32 v15, s2, v8
	v_mul_lo_u32 v16, v8, s22
	v_mul_lo_u32 v13, v4, s10
	;; [unrolled: 1-line block ×3, first 2 shown]
	v_sub_u32_e32 v16, v1, v16
	v_add_u32_e32 v1, v8, v15
	v_lshrrev_b32_e32 v1, s3, v1
	v_mul_lo_u32 v15, v1, s1
	v_mul_lo_u32 v17, v16, s12
	;; [unrolled: 1-line block ×3, first 2 shown]
	v_add3_u32 v11, v11, v14, v13
	v_sub_u32_e32 v8, v8, v15
	v_mul_lo_u32 v15, v8, s14
	v_mul_lo_u32 v8, v8, s15
	v_add3_u32 v3, v12, v3, v4
	v_add3_u32 v14, v17, v11, v15
	;; [unrolled: 1-line block ×3, first 2 shown]
	s_cbranch_scc1 .LBB9_1165
; %bb.1166:
	s_and_b32 s8, s31, 3
	s_cmp_eq_u32 s8, 0
	s_cbranch_scc0 .LBB9_1170
	s_branch .LBB9_1172
.LBB9_1167:
                                        ; implicit-def: $vgpr14
                                        ; implicit-def: $vgpr3
	s_branch .LBB9_1173
.LBB9_1168:
	v_mov_b32_e32 v14, 0
	s_waitcnt vmcnt(0)
	v_mov_b32_e32 v3, 0
	s_branch .LBB9_1172
.LBB9_1169:
	v_mov_b32_e32 v14, 0
	s_waitcnt vmcnt(0)
	v_mov_b32_e32 v3, 0
	v_mov_b32_e32 v1, v5
	s_and_b32 s8, s31, 3
	s_cmp_eq_u32 s8, 0
	s_cbranch_scc1 .LBB9_1172
.LBB9_1170:
	s_lshl_b32 s0, s30, 3
	s_add_u32 s0, s34, s0
	s_addc_u32 s1, s35, 0
	s_add_u32 s0, s0, 0xc4
	s_addc_u32 s1, s1, 0
	s_mul_i32 s2, s30, 12
	s_add_u32 s2, s34, s2
	s_addc_u32 s3, s35, 0
.LBB9_1171:                             ; =>This Inner Loop Header: Depth=1
	s_load_dwordx2 s[10:11], s[2:3], 0x4
	s_load_dword s9, s[2:3], 0xc
	s_load_dwordx2 s[12:13], s[0:1], 0x0
	s_add_u32 s2, s2, 12
	s_addc_u32 s3, s3, 0
	s_waitcnt lgkmcnt(0)
	v_mul_hi_u32 v4, s11, v1
	s_add_u32 s0, s0, 8
	s_addc_u32 s1, s1, 0
	s_add_i32 s8, s8, -1
	v_add_u32_e32 v4, v1, v4
	v_lshrrev_b32_e32 v8, s9, v4
	v_mul_lo_u32 v4, v8, s10
	s_cmp_lg_u32 s8, 0
	v_sub_u32_e32 v1, v1, v4
	v_mad_u64_u32 v[14:15], s[10:11], v1, s12, v[14:15]
	v_mad_u64_u32 v[3:4], s[10:11], v1, s13, v[3:4]
	v_mov_b32_e32 v1, v8
	s_cbranch_scc1 .LBB9_1171
.LBB9_1172:
	s_cbranch_execnz .LBB9_1175
.LBB9_1173:
	s_load_dwordx4 s[0:3], s[34:35], 0x4
	s_load_dwordx2 s[8:9], s[34:35], 0xc4
	s_cmp_lt_u32 s33, 2
	s_waitcnt lgkmcnt(0)
	v_mul_hi_u32 v1, s1, v5
	v_add_u32_e32 v1, v5, v1
	v_lshrrev_b32_e32 v1, s2, v1
	s_waitcnt vmcnt(0)
	v_mul_lo_u32 v3, v1, s0
	v_sub_u32_e32 v3, v5, v3
	v_mul_lo_u32 v14, v3, s8
	v_mul_lo_u32 v3, v3, s9
	s_cbranch_scc1 .LBB9_1175
; %bb.1174:
	s_load_dwordx4 s[0:3], s[34:35], 0x10
	s_load_dwordx2 s[8:9], s[34:35], 0xcc
	s_waitcnt lgkmcnt(0)
	v_mul_hi_u32 v4, s1, v1
	v_add_u32_e32 v4, v1, v4
	v_lshrrev_b32_e32 v4, s2, v4
	v_mul_lo_u32 v4, v4, s0
	v_sub_u32_e32 v1, v1, v4
	v_mad_u64_u32 v[14:15], s[0:1], v1, s8, v[14:15]
	v_mad_u64_u32 v[3:4], s[0:1], v1, s9, v[3:4]
.LBB9_1175:
	s_load_dwordx4 s[8:11], s[34:35], 0x148
	s_load_dword s33, s[4:5], 0x160
	s_waitcnt lgkmcnt(0)
	v_mov_b32_e32 v1, s11
	s_bfe_u32 s16, s33, 0x80010
	v_add_co_u32_e32 v0, vcc, s10, v0
	s_cmp_lt_i32 s16, 11
	v_addc_co_u32_e32 v1, vcc, 0, v1, vcc
	s_cbranch_scc1 .LBB9_1182
; %bb.1176:
	s_and_b32 s17, 0xffff, s16
	s_cmp_gt_i32 s17, 25
	s_mov_b64 s[4:5], 0
	s_cbranch_scc0 .LBB9_1184
; %bb.1177:
	s_cmp_gt_i32 s17, 28
	s_cbranch_scc0 .LBB9_1185
; %bb.1178:
	s_cmp_gt_i32 s17, 43
	;; [unrolled: 3-line block ×3, first 2 shown]
	s_cbranch_scc0 .LBB9_1187
; %bb.1180:
	s_cmp_eq_u32 s17, 46
	s_mov_b64 s[2:3], 0
	s_cbranch_scc0 .LBB9_1190
; %bb.1181:
	global_load_dword v4, v[0:1], off
	s_mov_b64 s[0:1], 0
	s_mov_b64 s[12:13], -1
	s_waitcnt vmcnt(0)
	v_lshlrev_b32_e32 v4, 16, v4
	v_cvt_f64_f32_e32 v[4:5], v4
	s_branch .LBB9_1191
.LBB9_1182:
	s_mov_b64 s[12:13], 0
                                        ; implicit-def: $vgpr4_vgpr5
	s_mov_b64 s[2:3], s[6:7]
	s_cbranch_execnz .LBB9_1254
.LBB9_1183:
	s_andn2_b64 vcc, exec, s[12:13]
	s_cbranch_vccz .LBB9_1299
	s_branch .LBB9_1797
.LBB9_1184:
	s_mov_b64 s[12:13], 0
	s_mov_b64 s[0:1], 0
                                        ; implicit-def: $vgpr4_vgpr5
	s_cbranch_execnz .LBB9_1221
	s_branch .LBB9_1250
.LBB9_1185:
	s_mov_b64 s[2:3], -1
	s_mov_b64 s[12:13], 0
	s_mov_b64 s[0:1], 0
                                        ; implicit-def: $vgpr4_vgpr5
	s_branch .LBB9_1200
.LBB9_1186:
	s_mov_b64 s[12:13], 0
	s_mov_b64 s[0:1], 0
                                        ; implicit-def: $vgpr4_vgpr5
	s_cbranch_execnz .LBB9_1196
	s_branch .LBB9_1199
.LBB9_1187:
	s_mov_b64 s[2:3], -1
	s_mov_b64 s[12:13], 0
	s_mov_b64 s[0:1], 0
                                        ; implicit-def: $vgpr4_vgpr5
	s_branch .LBB9_1191
.LBB9_1188:
	s_andn2_saveexec_b64 s[12:13], s[12:13]
	s_cbranch_execz .LBB9_1031
.LBB9_1189:
	s_mov_b32 s14, 0x46000000
	v_add_f32_e64 v3, |v2|, s14
	v_and_b32_e32 v3, 0xff, v3
	v_cmp_ne_u32_e32 vcc, 0, v3
	s_andn2_b64 s[10:11], s[10:11], exec
	s_and_b64 s[14:15], vcc, exec
	s_or_b64 s[10:11], s[10:11], s[14:15]
	s_or_b64 exec, exec, s[12:13]
	v_mov_b32_e32 v4, 0
	s_and_saveexec_b64 s[12:13], s[10:11]
	s_cbranch_execnz .LBB9_1032
	s_branch .LBB9_1033
.LBB9_1190:
	s_mov_b64 s[0:1], -1
                                        ; implicit-def: $vgpr4_vgpr5
	s_mov_b64 s[12:13], 0
.LBB9_1191:
	s_and_b64 vcc, exec, s[2:3]
	s_cbranch_vccz .LBB9_1194
; %bb.1192:
	s_cmp_eq_u32 s17, 44
	s_cbranch_scc0 .LBB9_1195
; %bb.1193:
	global_load_ubyte v8, v[0:1], off
	s_movk_i32 s2, 0xff
	v_bfrev_b32_e32 v11, 4
	v_mov_b32_e32 v12, 0x7ff80000
	v_bfrev_b32_e32 v13, 28
	s_mov_b64 s[0:1], 0
	s_mov_b64 s[12:13], -1
	s_waitcnt vmcnt(0)
	v_lshlrev_b32_e32 v4, 23, v8
	v_cvt_f64_f32_e32 v[4:5], v4
	v_cmp_ne_u32_e32 vcc, s2, v8
	v_cndmask_b32_e32 v4, v11, v4, vcc
	v_cndmask_b32_e32 v5, v12, v5, vcc
	v_cmp_ne_u32_e32 vcc, 0, v8
	v_cndmask_b32_e32 v5, v13, v5, vcc
	v_cndmask_b32_e32 v4, 0, v4, vcc
.LBB9_1194:
	s_branch .LBB9_1199
.LBB9_1195:
	s_mov_b64 s[0:1], -1
                                        ; implicit-def: $vgpr4_vgpr5
	s_branch .LBB9_1199
.LBB9_1196:
	s_cmp_eq_u32 s17, 29
	s_cbranch_scc0 .LBB9_1198
; %bb.1197:
	global_load_dwordx2 v[4:5], v[0:1], off
	s_mov_b64 s[0:1], 0
	s_mov_b64 s[12:13], -1
	s_mov_b64 s[2:3], 0
	s_waitcnt vmcnt(0)
	v_cvt_f64_u32_e32 v[11:12], v5
	v_cvt_f64_u32_e32 v[4:5], v4
	v_ldexp_f64 v[11:12], v[11:12], 32
	v_add_f64 v[4:5], v[11:12], v[4:5]
	s_branch .LBB9_1200
.LBB9_1198:
	s_mov_b64 s[0:1], -1
                                        ; implicit-def: $vgpr4_vgpr5
.LBB9_1199:
	s_mov_b64 s[2:3], 0
.LBB9_1200:
	s_and_b64 vcc, exec, s[2:3]
	s_cbranch_vccz .LBB9_1220
; %bb.1201:
	s_cmp_lt_i32 s17, 27
	s_cbranch_scc1 .LBB9_1204
; %bb.1202:
	s_cmp_gt_i32 s17, 27
	s_cbranch_scc0 .LBB9_1205
; %bb.1203:
	global_load_dword v4, v[0:1], off
	s_mov_b64 s[2:3], 0
	s_waitcnt vmcnt(0)
	v_cvt_f64_u32_e32 v[4:5], v4
	s_branch .LBB9_1206
.LBB9_1204:
	s_mov_b64 s[2:3], -1
                                        ; implicit-def: $vgpr4_vgpr5
	s_branch .LBB9_1209
.LBB9_1205:
	s_mov_b64 s[2:3], -1
                                        ; implicit-def: $vgpr4_vgpr5
.LBB9_1206:
	s_andn2_b64 vcc, exec, s[2:3]
	s_cbranch_vccnz .LBB9_1208
; %bb.1207:
	global_load_ushort v4, v[0:1], off
	s_waitcnt vmcnt(0)
	v_cvt_f64_u32_e32 v[4:5], v4
.LBB9_1208:
	s_mov_b64 s[2:3], 0
.LBB9_1209:
	s_andn2_b64 vcc, exec, s[2:3]
	s_cbranch_vccnz .LBB9_1219
; %bb.1210:
	global_load_ubyte v8, v[0:1], off
	s_movk_i32 s2, 0x7f
	s_waitcnt vmcnt(0)
	v_cmp_lt_i16_e32 vcc, s2, v8
	s_mov_b64 s[2:3], 0
	s_and_saveexec_b64 s[12:13], vcc
	s_xor_b64 s[12:13], exec, s[12:13]
	s_cbranch_execz .LBB9_1214
; %bb.1211:
	s_movk_i32 s2, 0x80
	v_cmp_eq_u16_e32 vcc, s2, v8
	s_mov_b64 s[2:3], -1
	s_and_saveexec_b64 s[14:15], vcc
; %bb.1212:
	s_xor_b64 s[2:3], exec, -1
; %bb.1213:
	s_or_b64 exec, exec, s[14:15]
	s_and_b64 s[2:3], s[2:3], exec
.LBB9_1214:
	s_or_saveexec_b64 s[12:13], s[12:13]
	v_bfrev_b32_e32 v4, 4
	v_mov_b32_e32 v5, 0x7ff80000
	s_xor_b64 exec, exec, s[12:13]
; %bb.1215:
	v_cmp_ne_u16_e32 vcc, 0, v8
	v_mov_b32_e32 v4, 0
	s_andn2_b64 s[2:3], s[2:3], exec
	s_and_b64 s[14:15], vcc, exec
	v_mov_b32_e32 v5, 0
	s_or_b64 s[2:3], s[2:3], s[14:15]
; %bb.1216:
	s_or_b64 exec, exec, s[12:13]
	s_and_saveexec_b64 s[12:13], s[2:3]
	s_cbranch_execz .LBB9_1218
; %bb.1217:
	v_and_b32_e32 v5, 0xffff, v8
	v_lshlrev_b32_e32 v4, 24, v8
	v_and_b32_e32 v8, 7, v5
	v_ffbh_u32_e32 v12, v8
	v_min_u32_e32 v12, 32, v12
	v_subrev_u32_e32 v13, 28, v12
	v_bfe_u32 v11, v5, 3, 4
	v_lshlrev_b32_e32 v5, v13, v5
	v_sub_u32_e32 v12, 29, v12
	v_and_b32_e32 v5, 7, v5
	v_cmp_eq_u32_e32 vcc, 0, v11
	v_cndmask_b32_e32 v11, v11, v12, vcc
	v_cndmask_b32_e32 v5, v8, v5, vcc
	v_mov_b32_e32 v8, 0x3b800000
	v_lshlrev_b32_e32 v5, 20, v5
	v_and_b32_e32 v4, 0x80000000, v4
	v_lshl_add_u32 v8, v11, 23, v8
	v_or3_b32 v4, v4, v8, v5
	v_cvt_f64_f32_e32 v[4:5], v4
.LBB9_1218:
	s_or_b64 exec, exec, s[12:13]
.LBB9_1219:
	s_mov_b64 s[12:13], -1
.LBB9_1220:
	s_branch .LBB9_1250
.LBB9_1221:
	s_cmp_gt_i32 s17, 22
	s_cbranch_scc0 .LBB9_1233
; %bb.1222:
	s_cmp_lt_i32 s17, 24
	s_cbranch_scc1 .LBB9_1234
; %bb.1223:
	s_cmp_gt_i32 s17, 24
	s_cbranch_scc0 .LBB9_1235
; %bb.1224:
	global_load_ubyte v8, v[0:1], off
	s_movk_i32 s2, 0x7f
	s_waitcnt vmcnt(0)
	v_cmp_lt_i16_e32 vcc, s2, v8
	s_mov_b64 s[2:3], 0
	s_and_saveexec_b64 s[4:5], vcc
	s_xor_b64 s[4:5], exec, s[4:5]
	s_cbranch_execz .LBB9_1228
; %bb.1225:
	s_movk_i32 s2, 0x80
	v_cmp_eq_u16_e32 vcc, s2, v8
	s_mov_b64 s[2:3], -1
	s_and_saveexec_b64 s[12:13], vcc
; %bb.1226:
	s_xor_b64 s[2:3], exec, -1
; %bb.1227:
	s_or_b64 exec, exec, s[12:13]
	s_and_b64 s[2:3], s[2:3], exec
.LBB9_1228:
	s_or_saveexec_b64 s[4:5], s[4:5]
	v_bfrev_b32_e32 v4, 4
	v_mov_b32_e32 v5, 0x7ff80000
	s_xor_b64 exec, exec, s[4:5]
; %bb.1229:
	v_cmp_ne_u16_e32 vcc, 0, v8
	v_mov_b32_e32 v4, 0
	s_andn2_b64 s[2:3], s[2:3], exec
	s_and_b64 s[12:13], vcc, exec
	v_mov_b32_e32 v5, 0
	s_or_b64 s[2:3], s[2:3], s[12:13]
; %bb.1230:
	s_or_b64 exec, exec, s[4:5]
	s_and_saveexec_b64 s[4:5], s[2:3]
	s_cbranch_execz .LBB9_1232
; %bb.1231:
	v_and_b32_e32 v5, 0xffff, v8
	v_lshlrev_b32_e32 v4, 24, v8
	v_and_b32_e32 v8, 3, v5
	v_ffbh_u32_e32 v12, v8
	v_min_u32_e32 v12, 32, v12
	v_subrev_u32_e32 v13, 29, v12
	v_bfe_u32 v11, v5, 2, 5
	v_lshlrev_b32_e32 v5, v13, v5
	v_sub_u32_e32 v12, 30, v12
	v_and_b32_e32 v5, 3, v5
	v_cmp_eq_u32_e32 vcc, 0, v11
	v_cndmask_b32_e32 v11, v11, v12, vcc
	v_cndmask_b32_e32 v5, v8, v5, vcc
	v_mov_b32_e32 v8, 0x37800000
	v_lshlrev_b32_e32 v5, 21, v5
	v_and_b32_e32 v4, 0x80000000, v4
	v_lshl_add_u32 v8, v11, 23, v8
	v_or3_b32 v4, v4, v8, v5
	v_cvt_f64_f32_e32 v[4:5], v4
.LBB9_1232:
	s_or_b64 exec, exec, s[4:5]
	s_mov_b64 s[2:3], 0
	s_branch .LBB9_1236
.LBB9_1233:
                                        ; implicit-def: $vgpr4_vgpr5
	s_mov_b64 s[4:5], 0
	s_branch .LBB9_1242
.LBB9_1234:
	s_mov_b64 s[2:3], -1
                                        ; implicit-def: $vgpr4_vgpr5
	s_branch .LBB9_1239
.LBB9_1235:
	s_mov_b64 s[2:3], -1
                                        ; implicit-def: $vgpr4_vgpr5
.LBB9_1236:
	s_and_b64 vcc, exec, s[2:3]
	s_cbranch_vccz .LBB9_1238
; %bb.1237:
	global_load_ubyte v4, v[0:1], off
	s_mov_b32 s2, 0x7f800000
	s_waitcnt vmcnt(0)
	v_lshlrev_b32_e32 v4, 24, v4
	v_and_b32_e32 v5, 0x7f000000, v4
	v_ffbh_u32_e32 v8, v5
	v_min_u32_e32 v8, 32, v8
	v_sub_u32_e64 v8, v8, 4 clamp
	v_lshlrev_b32_e32 v12, v8, v5
	v_lshlrev_b32_e32 v8, 23, v8
	v_lshrrev_b32_e32 v12, 4, v12
	v_add_u32_e32 v11, 0x1000000, v5
	v_sub_u32_e32 v8, v12, v8
	v_ashrrev_i32_e32 v11, 8, v11
	v_add_u32_e32 v8, 0x3c000000, v8
	v_and_or_b32 v8, v11, s2, v8
	v_cmp_ne_u32_e32 vcc, 0, v5
	v_cndmask_b32_e32 v5, 0, v8, vcc
	s_brev_b32 s2, 1
	v_and_or_b32 v4, v4, s2, v5
	v_cvt_f64_f32_e32 v[4:5], v4
.LBB9_1238:
	s_mov_b64 s[2:3], 0
.LBB9_1239:
	s_andn2_b64 vcc, exec, s[2:3]
	s_cbranch_vccnz .LBB9_1241
; %bb.1240:
	global_load_ubyte v4, v[0:1], off
	s_movk_i32 s2, 0x7f00
	s_brev_b32 s3, 16
	s_waitcnt vmcnt(0)
	v_lshlrev_b16_e32 v5, 8, v4
	v_lshlrev_b32_e32 v4, 25, v4
	v_lshrrev_b32_e32 v8, 4, v4
	v_and_or_b32 v11, v5, s2, 0.5
	v_or_b32_e32 v8, 0x70000000, v8
	v_add_f32_e32 v11, -0.5, v11
	v_mul_f32_e32 v8, 0x7800000, v8
	v_cmp_gt_u32_e32 vcc, s3, v4
	v_bfe_i32 v5, v5, 0, 16
	v_cndmask_b32_e32 v4, v8, v11, vcc
	s_brev_b32 s2, 1
	v_and_or_b32 v4, v5, s2, v4
	v_cvt_f64_f32_e32 v[4:5], v4
.LBB9_1241:
	s_mov_b64 s[12:13], -1
	s_mov_b64 s[4:5], 0
	s_cbranch_execnz .LBB9_1250
.LBB9_1242:
	s_cmp_gt_i32 s17, 14
	s_cbranch_scc0 .LBB9_1245
; %bb.1243:
	s_cmp_eq_u32 s17, 15
	s_cbranch_scc0 .LBB9_1246
; %bb.1244:
	global_load_ushort v4, v[0:1], off
	s_mov_b64 s[0:1], 0
	s_mov_b64 s[12:13], -1
	s_waitcnt vmcnt(0)
	v_lshlrev_b32_e32 v4, 16, v4
	v_cvt_f64_f32_e32 v[4:5], v4
	s_branch .LBB9_1247
.LBB9_1245:
	s_mov_b64 s[2:3], -1
                                        ; implicit-def: $vgpr4_vgpr5
	s_branch .LBB9_1248
.LBB9_1246:
	s_mov_b64 s[0:1], -1
                                        ; implicit-def: $vgpr4_vgpr5
.LBB9_1247:
	s_mov_b64 s[2:3], 0
.LBB9_1248:
	s_and_b64 vcc, exec, s[2:3]
	s_cbranch_vccz .LBB9_1250
; %bb.1249:
	s_cmp_lg_u32 s17, 11
	s_mov_b64 s[4:5], -1
	s_cselect_b64 s[0:1], -1, 0
.LBB9_1250:
	s_and_b64 vcc, exec, s[0:1]
	s_mov_b64 s[2:3], s[6:7]
	s_cbranch_vccnz .LBB9_1319
; %bb.1251:
	s_andn2_b64 vcc, exec, s[4:5]
	s_cbranch_vccnz .LBB9_1253
.LBB9_1252:
	global_load_ubyte v5, v[0:1], off
	v_mov_b32_e32 v8, 0x3ff00000
	s_waitcnt vmcnt(1)
	v_mov_b32_e32 v4, 0
	s_mov_b64 s[12:13], -1
	s_waitcnt vmcnt(0)
	v_cmp_ne_u16_e32 vcc, 0, v5
	v_cndmask_b32_e32 v5, 0, v8, vcc
.LBB9_1253:
	s_branch .LBB9_1183
.LBB9_1254:
	s_and_b32 s4, 0xffff, s16
	s_cmp_lt_i32 s4, 5
	s_cbranch_scc1 .LBB9_1259
; %bb.1255:
	s_cmp_lt_i32 s4, 8
	s_cbranch_scc1 .LBB9_1260
; %bb.1256:
	;; [unrolled: 3-line block ×3, first 2 shown]
	s_cmp_gt_i32 s4, 9
	s_cbranch_scc0 .LBB9_1262
; %bb.1258:
	global_load_dwordx2 v[4:5], v[0:1], off
	s_mov_b64 s[0:1], 0
	s_branch .LBB9_1263
.LBB9_1259:
                                        ; implicit-def: $vgpr4_vgpr5
	s_branch .LBB9_1280
.LBB9_1260:
                                        ; implicit-def: $vgpr4_vgpr5
	s_branch .LBB9_1269
.LBB9_1261:
	s_mov_b64 s[0:1], -1
                                        ; implicit-def: $vgpr4_vgpr5
	s_branch .LBB9_1266
.LBB9_1262:
	s_mov_b64 s[0:1], -1
                                        ; implicit-def: $vgpr4_vgpr5
.LBB9_1263:
	s_andn2_b64 vcc, exec, s[0:1]
	s_cbranch_vccnz .LBB9_1265
; %bb.1264:
	global_load_dword v4, v[0:1], off
	s_waitcnt vmcnt(0)
	v_cvt_f64_f32_e32 v[4:5], v4
.LBB9_1265:
	s_mov_b64 s[0:1], 0
.LBB9_1266:
	s_andn2_b64 vcc, exec, s[0:1]
	s_cbranch_vccnz .LBB9_1268
; %bb.1267:
	global_load_dword v4, v[0:1], off
	s_waitcnt vmcnt(0)
	v_cvt_f32_f16_e32 v4, v4
	v_cvt_f64_f32_e32 v[4:5], v4
.LBB9_1268:
	s_cbranch_execnz .LBB9_1279
.LBB9_1269:
	s_cmp_lt_i32 s4, 6
	s_cbranch_scc1 .LBB9_1272
; %bb.1270:
	s_cmp_gt_i32 s4, 6
	s_cbranch_scc0 .LBB9_1273
; %bb.1271:
	global_load_dwordx2 v[4:5], v[0:1], off
	s_mov_b64 s[0:1], 0
	s_branch .LBB9_1274
.LBB9_1272:
	s_mov_b64 s[0:1], -1
                                        ; implicit-def: $vgpr4_vgpr5
	s_branch .LBB9_1277
.LBB9_1273:
	s_mov_b64 s[0:1], -1
                                        ; implicit-def: $vgpr4_vgpr5
.LBB9_1274:
	s_andn2_b64 vcc, exec, s[0:1]
	s_cbranch_vccnz .LBB9_1276
; %bb.1275:
	global_load_dword v4, v[0:1], off
	s_waitcnt vmcnt(0)
	v_cvt_f64_f32_e32 v[4:5], v4
.LBB9_1276:
	s_mov_b64 s[0:1], 0
.LBB9_1277:
	s_andn2_b64 vcc, exec, s[0:1]
	s_cbranch_vccnz .LBB9_1279
; %bb.1278:
	global_load_ushort v4, v[0:1], off
	s_waitcnt vmcnt(0)
	v_cvt_f32_f16_e32 v4, v4
	v_cvt_f64_f32_e32 v[4:5], v4
.LBB9_1279:
	s_cbranch_execnz .LBB9_1298
.LBB9_1280:
	s_cmp_lt_i32 s4, 2
	s_cbranch_scc1 .LBB9_1284
; %bb.1281:
	s_cmp_lt_i32 s4, 3
	s_cbranch_scc1 .LBB9_1285
; %bb.1282:
	s_cmp_gt_i32 s4, 3
	s_cbranch_scc0 .LBB9_1286
; %bb.1283:
	global_load_dwordx2 v[4:5], v[0:1], off
	s_mov_b64 s[0:1], 0
	s_waitcnt vmcnt(0)
	v_cvt_f64_i32_e32 v[11:12], v5
	v_cvt_f64_u32_e32 v[4:5], v4
	v_ldexp_f64 v[11:12], v[11:12], 32
	v_add_f64 v[4:5], v[11:12], v[4:5]
	s_branch .LBB9_1287
.LBB9_1284:
                                        ; implicit-def: $vgpr4_vgpr5
	s_branch .LBB9_1293
.LBB9_1285:
	s_mov_b64 s[0:1], -1
                                        ; implicit-def: $vgpr4_vgpr5
	s_branch .LBB9_1290
.LBB9_1286:
	s_mov_b64 s[0:1], -1
                                        ; implicit-def: $vgpr4_vgpr5
.LBB9_1287:
	s_andn2_b64 vcc, exec, s[0:1]
	s_cbranch_vccnz .LBB9_1289
; %bb.1288:
	global_load_dword v4, v[0:1], off
	s_waitcnt vmcnt(0)
	v_cvt_f64_i32_e32 v[4:5], v4
.LBB9_1289:
	s_mov_b64 s[0:1], 0
.LBB9_1290:
	s_andn2_b64 vcc, exec, s[0:1]
	s_cbranch_vccnz .LBB9_1292
; %bb.1291:
	global_load_sshort v4, v[0:1], off
	s_waitcnt vmcnt(0)
	v_cvt_f64_i32_e32 v[4:5], v4
.LBB9_1292:
	s_cbranch_execnz .LBB9_1298
.LBB9_1293:
	s_cmp_gt_i32 s4, 0
	s_cbranch_scc0 .LBB9_1295
; %bb.1294:
	global_load_sbyte v4, v[0:1], off
	s_mov_b64 s[0:1], 0
	s_waitcnt vmcnt(0)
	v_cvt_f64_i32_e32 v[4:5], v4
	s_branch .LBB9_1296
.LBB9_1295:
	s_mov_b64 s[0:1], -1
                                        ; implicit-def: $vgpr4_vgpr5
.LBB9_1296:
	s_andn2_b64 vcc, exec, s[0:1]
	s_cbranch_vccnz .LBB9_1298
; %bb.1297:
	global_load_ubyte v0, v[0:1], off
	s_waitcnt vmcnt(0)
	v_cvt_f64_u32_e32 v[4:5], v0
.LBB9_1298:
.LBB9_1299:
	s_waitcnt vmcnt(0)
	v_cmp_neq_f64_e32 vcc, 0, v[4:5]
	v_mov_b32_e32 v0, 0
	v_mov_b32_e32 v1, 0x7ff00000
	s_and_saveexec_b64 s[4:5], vcc
	s_cbranch_execz .LBB9_1307
; %bb.1300:
	v_cmp_ngt_f64_e32 vcc, 0, v[4:5]
	v_mov_b32_e32 v0, 0
	v_mov_b32_e32 v1, 0x7ff80000
	s_and_saveexec_b64 s[12:13], vcc
	s_cbranch_execz .LBB9_1306
; %bb.1301:
	v_cmp_ge_f64_e32 vcc, 2.0, v[4:5]
                                        ; implicit-def: $vgpr0_vgpr1
	s_and_saveexec_b64 s[0:1], vcc
	s_xor_b64 s[14:15], exec, s[0:1]
	s_cbranch_execz .LBB9_1303
; %bb.1302:
	v_fma_f64 v[0:1], v[4:5], 0.5, -2.0
	v_mov_b32_e32 v11, 0x977da589
	v_mov_b32_e32 v12, 0x3c833362
	s_mov_b32 s1, 0xbc545cb7
	s_mov_b32 s0, 0x2134d0ef
	;; [unrolled: 1-line block ×5, first 2 shown]
	v_fma_f64 v[11:12], v[0:1], s[0:1], v[11:12]
	s_mov_b32 s1, 0x3c545cb7
	s_mov_b32 s19, 0xbf0e2b26
	;; [unrolled: 1-line block ×7, first 2 shown]
	v_fma_f64 v[15:16], v[0:1], v[11:12], s[0:1]
	s_mov_b32 s0, 0x721ebbb4
	s_mov_b32 s1, 0xbcb184eb
	;; [unrolled: 1-line block ×7, first 2 shown]
	v_add_f64 v[15:16], v[15:16], s[0:1]
	s_mov_b32 s0, 0x93f65eba
	s_mov_b32 s1, 0x3cdee6d8
	;; [unrolled: 1-line block ×7, first 2 shown]
	v_fma_f64 v[11:12], v[0:1], v[15:16], -v[11:12]
	s_mov_b32 s24, 0x3b39803f
	s_mov_b32 s34, 0x67e58a13
	;; [unrolled: 1-line block ×5, first 2 shown]
	v_mov_b32_e32 v13, 0xfff00000
	v_add_f64 v[11:12], v[11:12], s[0:1]
	s_mov_b32 s0, 0xc297fbeb
	s_mov_b32 s1, 0xbd0a5022
	v_fma_f64 v[15:16], v[0:1], v[11:12], -v[15:16]
	v_add_f64 v[15:16], v[15:16], s[0:1]
	s_mov_b32 s0, 0x4b262627
	s_mov_b32 s1, 0x3d359b46
	v_fma_f64 v[11:12], v[0:1], v[15:16], -v[11:12]
	;; [unrolled: 4-line block ×4, first 2 shown]
	v_add_f64 v[17:18], v[11:12], s[0:1]
	v_mul_f64 v[11:12], v[4:5], 0.5
	s_mov_b32 s0, 0x7a946abc
	s_mov_b32 s1, 0xbdb2fc95
	v_fma_f64 v[15:16], v[0:1], v[17:18], -v[15:16]
	v_frexp_mant_f64_e32 v[19:20], v[11:12]
	v_add_f64 v[15:16], v[15:16], s[0:1]
	v_cmp_gt_f64_e32 vcc, s[16:17], v[19:20]
	s_mov_b32 s0, 0xcc743c10
	s_mov_b32 s1, 0x3dda98be
	;; [unrolled: 1-line block ×3, first 2 shown]
	v_fma_f64 v[17:18], v[0:1], v[15:16], -v[17:18]
	v_cndmask_b32_e64 v8, 0, 1, vcc
	v_ldexp_f64 v[19:20], v[19:20], v8
	v_frexp_exp_i32_f64_e32 v8, v[11:12]
	v_add_f64 v[17:18], v[17:18], s[0:1]
	s_mov_b32 s0, 0x13ae9556
	v_add_f64 v[21:22], v[19:20], 1.0
	s_mov_b32 s1, 0xbe01d4fe
	v_add_f64 v[27:28], v[19:20], -1.0
	v_subbrev_co_u32_e32 v8, vcc, 0, v8, vcc
	v_cvt_f64_i32_e32 v[37:38], v8
	v_fma_f64 v[15:16], v[0:1], v[17:18], -v[15:16]
	v_rcp_f64_e32 v[23:24], v[21:22]
	v_add_f64 v[29:30], v[21:22], -1.0
	v_mul_f64 v[39:40], v[37:38], s[30:31]
	v_add_f64 v[15:16], v[15:16], s[0:1]
	s_mov_b32 s0, 0xa454cb34
	s_mov_b32 s1, 0x3e26d903
	v_add_f64 v[19:20], v[19:20], -v[29:30]
	v_fma_f64 v[17:18], v[0:1], v[15:16], -v[17:18]
	v_fma_f64 v[25:26], -v[21:22], v[23:24], 1.0
	v_fma_f64 v[23:24], v[25:26], v[23:24], v[23:24]
	v_add_f64 v[25:26], v[17:18], s[0:1]
	s_mov_b32 s0, 0x8c0b30ab
	s_mov_b32 s1, 0xbe4beaf6
	v_fma_f64 v[17:18], -v[21:22], v[23:24], 1.0
	v_fma_f64 v[15:16], v[0:1], v[25:26], -v[15:16]
	v_fma_f64 v[23:24], v[17:18], v[23:24], v[23:24]
	v_add_f64 v[15:16], v[15:16], s[0:1]
	s_mov_b32 s0, 0x9d4d6435
	s_mov_b32 s1, 0x3e703b76
	v_mul_f64 v[17:18], v[27:28], v[23:24]
	v_fma_f64 v[25:26], v[0:1], v[15:16], -v[25:26]
	v_mul_f64 v[31:32], v[21:22], v[17:18]
	v_add_f64 v[25:26], v[25:26], s[0:1]
	s_mov_b32 s0, 0x8f227f8d
	s_mov_b32 s1, 0xbe91ec63
	v_fma_f64 v[21:22], v[17:18], v[21:22], -v[31:32]
	v_fma_f64 v[15:16], v[0:1], v[25:26], -v[15:16]
	v_fma_f64 v[19:20], v[17:18], v[19:20], v[21:22]
	v_add_f64 v[15:16], v[15:16], s[0:1]
	s_mov_b32 s0, 0x978cf4ac
	s_mov_b32 s1, 0x3eb2bf24
	v_add_f64 v[21:22], v[31:32], v[19:20]
	v_fma_f64 v[25:26], v[0:1], v[15:16], -v[25:26]
	v_add_f64 v[29:30], v[27:28], -v[21:22]
	v_add_f64 v[25:26], v[25:26], s[0:1]
	v_add_f64 v[31:32], v[21:22], -v[31:32]
	s_mov_b32 s0, 0xcba56427
	s_mov_b32 s1, 0xbed2866f
	v_add_f64 v[27:28], v[27:28], -v[29:30]
	v_fma_f64 v[15:16], v[0:1], v[25:26], -v[15:16]
	v_add_f64 v[19:20], v[31:32], -v[19:20]
	v_mov_b32_e32 v31, 0xc384c2aa
	v_mov_b32_e32 v32, 0x3d27fb0a
	v_add_f64 v[21:22], v[27:28], -v[21:22]
	v_add_f64 v[15:16], v[15:16], s[0:1]
	s_mov_b32 s0, 0xbe9a2859
	s_mov_b32 s1, 0x3ef13f58
	v_add_f64 v[19:20], v[19:20], v[21:22]
	v_fma_f64 v[21:22], v[0:1], v[15:16], -v[25:26]
	v_add_f64 v[19:20], v[29:30], v[19:20]
	v_add_f64 v[21:22], v[21:22], s[0:1]
	s_mov_b32 s0, 0xbf559e2b
	s_mov_b32 s1, 0x3fc3ab76
	v_mul_f64 v[19:20], v[23:24], v[19:20]
	v_fma_f64 v[15:16], v[0:1], v[21:22], -v[15:16]
	v_mov_b32_e32 v23, 0x6b47b09a
	v_mov_b32_e32 v24, 0x3fc38538
	v_add_f64 v[25:26], v[17:18], v[19:20]
	v_add_f64 v[27:28], v[15:16], s[18:19]
	s_mov_b32 s18, 0xd7f4df2e
	s_mov_b32 s19, 0x3fc7474d
	v_mul_f64 v[29:30], v[25:26], v[25:26]
	v_fma_f64 v[15:16], v[0:1], v[27:28], -v[21:22]
	v_add_f64 v[17:18], v[25:26], -v[17:18]
	v_fma_f64 v[21:22], v[29:30], s[0:1], v[23:24]
	s_mov_b32 s0, 0x74107cab
	s_mov_b32 s1, 0x3f28b51b
	v_add_f64 v[23:24], v[15:16], s[0:1]
	s_mov_b32 s0, 0x1f15eb52
	s_mov_b32 s1, 0xbf42e2fd
	v_fma_f64 v[15:16], v[4:5], v[4:5], -2.0
	v_mul_f64 v[33:34], v[25:26], v[29:30]
	v_fma_f64 v[21:22], v[29:30], v[21:22], s[18:19]
	v_add_f64 v[19:20], v[19:20], -v[17:18]
	s_mov_b32 s18, 0x554a9085
	v_fma_f64 v[27:28], v[0:1], v[23:24], -v[27:28]
	s_mov_b32 s19, 0x3fa26bf6
	v_fma_f64 v[21:22], v[29:30], v[21:22], s[20:21]
	v_ldexp_f64 v[19:20], v[19:20], 1
	s_mov_b32 s20, 0x75633d73
	v_add_f64 v[27:28], v[27:28], s[0:1]
	s_mov_b32 s21, 0x3f54b82e
	s_mov_b32 s0, 0x81213db9
	s_mov_b32 s1, 0x3fd608d8
	v_fma_f64 v[21:22], v[29:30], v[21:22], s[22:23]
	s_mov_b32 s22, 0xfe8cfca0
	s_mov_b32 s23, 0x3ef7f900
	v_fma_f64 v[23:24], v[0:1], v[27:28], -v[23:24]
	v_fma_f64 v[21:22], v[29:30], v[21:22], s[36:37]
	s_mov_b32 s36, 0x8a12100e
	s_mov_b32 s37, 0x3f5adc75
	v_add_f64 v[23:24], v[23:24], s[36:37]
	s_mov_b32 s36, 0x201aa849
	s_mov_b32 s37, 0xbf71b65e
	v_fma_f64 v[21:22], v[29:30], v[21:22], s[16:17]
	v_fma_f64 v[29:30], v[15:16], s[38:39], v[31:32]
	v_ldexp_f64 v[31:32], v[25:26], 1
	v_fma_f64 v[27:28], v[0:1], v[23:24], -v[27:28]
	s_mov_b32 s39, 0xbca3cee1
	s_mov_b32 s16, 0xf3dde3dd
	;; [unrolled: 1-line block ×3, first 2 shown]
	v_mul_f64 v[21:22], v[33:34], v[21:22]
	v_mul_f64 v[33:34], v[4:5], s[42:43]
	v_fma_f64 v[35:36], v[15:16], v[29:30], s[38:39]
	v_add_f64 v[27:28], v[27:28], s[36:37]
	s_mov_b32 s36, 0xf121b6f0
	s_mov_b32 s37, 0xbf984e9e
	v_add_f64 v[25:26], v[31:32], v[21:22]
	v_rndne_f64_e32 v[17:18], v[33:34]
	v_add_f64 v[35:36], v[35:36], s[40:41]
	v_fma_f64 v[23:24], v[0:1], v[27:28], -v[23:24]
	v_fma_f64 v[33:34], v[37:38], s[30:31], -v[39:40]
	s_mov_b32 s31, 0xbfe62e42
	v_add_f64 v[31:32], v[25:26], -v[31:32]
	v_fma_f64 v[4:5], v[17:18], s[30:31], v[4:5]
	v_fma_f64 v[29:30], v[15:16], v[35:36], -v[29:30]
	v_add_f64 v[23:24], v[23:24], s[16:17]
	v_fma_f64 v[33:34], v[37:38], s[24:25], v[33:34]
	s_mov_b32 s25, 0xbc7abc9e
	s_mov_b32 s16, 0xcea8a32d
	;; [unrolled: 1-line block ×3, first 2 shown]
	v_add_f64 v[21:22], v[21:22], -v[31:32]
	v_fma_f64 v[4:5], v[17:18], s[24:25], v[4:5]
	v_add_f64 v[29:30], v[29:30], s[34:35]
	v_fma_f64 v[27:28], v[0:1], v[23:24], -v[27:28]
	s_mov_b32 s24, 0x6a5dcb37
	v_mov_b32_e32 v31, 0xfca7ab0c
	v_mov_b32_e32 v32, 0x3e928af3
	s_mov_b32 s25, 0x3e5ade15
	v_add_f64 v[19:20], v[19:20], v[21:22]
	v_fma_f64 v[31:32], v[4:5], s[24:25], v[31:32]
	v_fma_f64 v[35:36], v[15:16], v[29:30], -v[35:36]
	v_add_f64 v[21:22], v[27:28], s[36:37]
	v_add_f64 v[27:28], v[39:40], v[33:34]
	s_mov_b32 s17, 0x3fa93e8a
	s_mov_b32 s31, 0x3ec71dee
	s_mov_b32 s24, 0x342d06ea
	v_add_f64 v[37:38], v[25:26], v[19:20]
	v_fma_f64 v[31:32], v[4:5], v[31:32], s[30:31]
	v_add_f64 v[35:36], v[35:36], s[26:27]
	v_fma_f64 v[23:24], v[0:1], v[21:22], -v[23:24]
	s_mov_b32 s26, 0x7c89e6b0
	s_mov_b32 s27, 0x3efa0199
	;; [unrolled: 1-line block ×4, first 2 shown]
	v_add_f64 v[41:42], v[27:28], v[37:38]
	v_fma_f64 v[31:32], v[4:5], v[31:32], s[26:27]
	v_fma_f64 v[29:30], v[15:16], v[35:36], -v[29:30]
	v_add_f64 v[23:24], v[23:24], s[16:17]
	s_mov_b32 s31, 0x3f2a01a0
	v_add_f64 v[39:40], v[27:28], -v[39:40]
	v_add_f64 v[25:26], v[37:38], -v[25:26]
	s_mov_b32 s26, 0x1852b7b0
	v_add_f64 v[43:44], v[41:42], -v[27:28]
	v_fma_f64 v[31:32], v[4:5], v[31:32], s[30:31]
	v_add_f64 v[29:30], v[29:30], s[22:23]
	v_fma_f64 v[21:22], v[0:1], v[23:24], -v[21:22]
	s_mov_b32 s27, 0x3f56c16c
	v_add_f64 v[33:34], v[33:34], -v[39:40]
	v_add_f64 v[19:20], v[19:20], -v[25:26]
	s_mov_b32 s16, 0x77ac88c0
	v_add_f64 v[45:46], v[41:42], -v[43:44]
	v_add_f64 v[25:26], v[37:38], -v[43:44]
	v_fma_f64 v[35:36], v[15:16], v[29:30], -v[35:36]
	v_add_f64 v[21:22], v[21:22], s[24:25]
	v_fma_f64 v[31:32], v[4:5], v[31:32], s[26:27]
	s_mov_b32 s22, 0x11122322
	s_mov_b32 s17, 0x3fc5f7ac
	;; [unrolled: 1-line block ×3, first 2 shown]
	v_add_f64 v[27:28], v[27:28], -v[45:46]
	v_add_f64 v[37:38], v[33:34], v[19:20]
	v_cvt_i32_f64_e32 v8, v[17:18]
	v_fma_f64 v[23:24], v[0:1], v[21:22], -v[23:24]
	v_fma_f64 v[31:32], v[4:5], v[31:32], s[22:23]
	v_add_f64 v[25:26], v[25:26], v[27:28]
	v_add_f64 v[27:28], v[35:36], s[20:21]
	s_mov_b32 s20, 0x555502a1
	v_add_f64 v[23:24], v[23:24], s[16:17]
	s_mov_b32 s21, 0x3fa55555
	v_fma_f64 v[31:32], v[4:5], v[31:32], s[20:21]
	s_mov_b32 s16, 0xc057cd8d
	v_add_f64 v[35:36], v[37:38], -v[33:34]
	v_add_f64 v[25:26], v[37:38], v[25:26]
	v_fma_f64 v[29:30], v[15:16], v[27:28], -v[29:30]
	s_mov_b32 s20, 0x55555511
	v_fma_f64 v[21:22], v[0:1], v[23:24], -v[21:22]
	s_mov_b32 s17, 0xbfd37feb
	s_mov_b32 s21, 0x3fc55555
	v_fma_f64 v[31:32], v[4:5], v[31:32], s[20:21]
	v_add_f64 v[37:38], v[37:38], -v[35:36]
	v_add_f64 v[39:40], v[41:42], v[25:26]
	v_add_f64 v[29:30], v[29:30], s[18:19]
	v_add_f64 v[19:20], v[19:20], -v[35:36]
	v_add_f64 v[21:22], v[21:22], s[16:17]
	s_mov_b32 s16, 11
	s_mov_b32 s17, 0x3fe00000
	v_fma_f64 v[31:32], v[4:5], v[31:32], s[16:17]
	v_add_f64 v[33:34], v[33:34], -v[37:38]
	v_add_f64 v[35:36], v[39:40], -v[41:42]
	v_fma_f64 v[27:28], v[15:16], v[29:30], -v[27:28]
	s_mov_b32 s16, 0x9035a22a
	v_fma_f64 v[0:1], v[0:1], v[21:22], -v[23:24]
	s_mov_b32 s17, 0x3fe5a84e
	v_add_f64 v[19:20], v[19:20], v[33:34]
	v_add_f64 v[21:22], v[25:26], -v[35:36]
	v_add_f64 v[25:26], v[27:28], s[0:1]
	v_fma_f64 v[27:28], v[4:5], v[31:32], 1.0
	v_add_f64 v[0:1], v[0:1], s[16:17]
	s_mov_b32 s0, 0xe9d2f61f
	s_mov_b32 s1, 0xbfe12166
	v_add_f64 v[19:20], v[19:20], v[21:22]
	v_fma_f64 v[15:16], v[15:16], v[25:26], -v[29:30]
	v_fma_f64 v[4:5], v[4:5], v[27:28], 1.0
	v_add_f64 v[0:1], v[0:1], -v[23:24]
	v_add_f64 v[17:18], v[39:40], v[19:20]
	v_add_f64 v[15:16], v[15:16], s[0:1]
	v_ldexp_f64 v[4:5], v[4:5], v8
	v_mul_f64 v[0:1], v[0:1], 0.5
	s_mov_b32 s0, 0
	s_mov_b32 s1, 0x7ff00000
	v_cmp_neq_f64_e32 vcc, s[0:1], v[11:12]
	v_cmp_neq_f64_e64 s[0:1], 0, v[11:12]
	v_mov_b32_e32 v8, 0x7ff00000
	v_add_f64 v[11:12], v[15:16], -v[29:30]
	v_mul_f64 v[0:1], v[4:5], v[0:1]
	v_cndmask_b32_e32 v8, v8, v18, vcc
	s_and_b64 vcc, s[0:1], vcc
	v_cndmask_b32_e64 v16, v13, v8, s[0:1]
	v_cndmask_b32_e32 v15, 0, v17, vcc
	v_mul_f64 v[0:1], v[15:16], v[0:1]
	v_fma_f64 v[0:1], v[11:12], 0.5, -v[0:1]
	v_mul_f64 v[0:1], v[4:5], v[0:1]
                                        ; implicit-def: $vgpr4_vgpr5
.LBB9_1303:
	s_andn2_saveexec_b64 s[0:1], s[14:15]
	s_cbranch_execz .LBB9_1305
; %bb.1304:
	s_mov_b32 s14, 0
	s_mov_b32 s15, 0x40200000
	v_div_scale_f64 v[0:1], s[16:17], v[4:5], v[4:5], s[14:15]
	v_mov_b32_e32 v8, 0x100
	v_mov_b32_e32 v13, 0x260
	v_rcp_f64_e32 v[11:12], v[0:1]
	v_fma_f64 v[15:16], -v[0:1], v[11:12], 1.0
	v_fma_f64 v[11:12], v[11:12], v[15:16], v[11:12]
	v_div_scale_f64 v[15:16], vcc, s[14:15], v[4:5], s[14:15]
	v_fma_f64 v[17:18], -v[0:1], v[11:12], 1.0
	v_fma_f64 v[11:12], v[11:12], v[17:18], v[11:12]
	v_mul_f64 v[17:18], v[15:16], v[11:12]
	v_fma_f64 v[0:1], -v[0:1], v[17:18], v[15:16]
	v_div_fmas_f64 v[0:1], v[0:1], v[11:12], v[17:18]
	v_mov_b32_e32 v11, 0x93812603
	v_mov_b32_e32 v12, 0xbc72fecc
	v_div_fixup_f64 v[0:1], v[0:1], v[4:5], s[14:15]
	s_mov_b32 s15, 0x3c5871a5
	s_mov_b32 s14, 0xcf8c9ee1
	v_add_f64 v[0:1], v[0:1], -2.0
	v_fma_f64 v[11:12], v[0:1], s[14:15], v[11:12]
	s_mov_b32 s15, 0xbc5871a5
	v_fma_f64 v[15:16], v[0:1], v[11:12], s[14:15]
	s_mov_b32 s14, 0x41a8cdf4
	s_mov_b32 s15, 0x3c8e092e
	v_add_f64 v[15:16], v[15:16], s[14:15]
	s_mov_b32 s14, 0x74d77641
	s_mov_b32 s15, 0xbca82f94
	v_fma_f64 v[11:12], v[0:1], v[15:16], -v[11:12]
	v_add_f64 v[11:12], v[11:12], s[14:15]
	s_mov_b32 s14, 0x6b94785b
	s_mov_b32 s15, 0x3cc3dbf9
	v_fma_f64 v[15:16], v[0:1], v[11:12], -v[15:16]
	;; [unrolled: 4-line block ×17, first 2 shown]
	v_add_f64 v[11:12], v[11:12], s[14:15]
	s_mov_b32 s14, 0
	s_brev_b32 s15, 8
	v_cmp_gt_f64_e32 vcc, s[14:15], v[4:5]
	s_mov_b32 s14, 0xcc7470a9
	s_mov_b32 s15, 0x3eed413f
	v_fma_f64 v[15:16], v[0:1], v[11:12], -v[15:16]
	v_cndmask_b32_e32 v8, 0, v8, vcc
	v_ldexp_f64 v[4:5], v[4:5], v8
	v_mov_b32_e32 v8, 0xffffff80
	v_cndmask_b32_e32 v8, 0, v8, vcc
	v_add_f64 v[15:16], v[15:16], s[14:15]
	s_mov_b32 s14, 0xe7889f42
	s_mov_b32 s15, 0xbf20d797
	v_rsq_f64_e32 v[17:18], v[4:5]
	v_cmp_class_f64_e32 vcc, v[4:5], v13
	v_fma_f64 v[11:12], v[0:1], v[15:16], -v[11:12]
	v_add_f64 v[11:12], v[11:12], s[14:15]
	s_mov_b32 s14, 0xfca79342
	s_mov_b32 s15, 0x3f59b891
	v_mul_f64 v[19:20], v[4:5], v[17:18]
	v_mul_f64 v[17:18], v[17:18], 0.5
	v_fma_f64 v[15:16], v[0:1], v[11:12], -v[15:16]
	v_fma_f64 v[21:22], -v[17:18], v[19:20], 0.5
	v_add_f64 v[15:16], v[15:16], s[14:15]
	s_mov_b32 s14, 0x2d4ff71e
	s_mov_b32 s15, 0xbfa019f7
	v_fma_f64 v[19:20], v[19:20], v[21:22], v[19:20]
	v_fma_f64 v[17:18], v[17:18], v[21:22], v[17:18]
	v_fma_f64 v[11:12], v[0:1], v[15:16], -v[11:12]
	v_fma_f64 v[21:22], -v[19:20], v[19:20], v[4:5]
	v_add_f64 v[11:12], v[11:12], s[14:15]
	s_mov_b32 s14, 0x9f4e6907
	s_mov_b32 s15, 0x400385bd
	v_fma_f64 v[19:20], v[21:22], v[17:18], v[19:20]
	v_fma_f64 v[0:1], v[0:1], v[11:12], -v[15:16]
	v_fma_f64 v[11:12], -v[19:20], v[19:20], v[4:5]
	v_add_f64 v[0:1], v[0:1], s[14:15]
	v_fma_f64 v[11:12], v[11:12], v[17:18], v[19:20]
	v_add_f64 v[0:1], v[0:1], -v[15:16]
	v_ldexp_f64 v[11:12], v[11:12], v8
	v_mul_f64 v[0:1], v[0:1], 0.5
	v_cndmask_b32_e32 v5, v12, v5, vcc
	v_cndmask_b32_e32 v4, v11, v4, vcc
	v_div_scale_f64 v[11:12], s[14:15], v[4:5], v[4:5], v[0:1]
	v_div_scale_f64 v[19:20], vcc, v[0:1], v[4:5], v[0:1]
	v_rcp_f64_e32 v[15:16], v[11:12]
	v_fma_f64 v[17:18], -v[11:12], v[15:16], 1.0
	v_fma_f64 v[15:16], v[15:16], v[17:18], v[15:16]
	v_fma_f64 v[17:18], -v[11:12], v[15:16], 1.0
	v_fma_f64 v[15:16], v[15:16], v[17:18], v[15:16]
	v_mul_f64 v[17:18], v[19:20], v[15:16]
	v_fma_f64 v[11:12], -v[11:12], v[17:18], v[19:20]
	v_div_fmas_f64 v[11:12], v[11:12], v[15:16], v[17:18]
	v_div_fixup_f64 v[0:1], v[11:12], v[4:5], v[0:1]
.LBB9_1305:
	s_or_b64 exec, exec, s[0:1]
.LBB9_1306:
	s_or_b64 exec, exec, s[12:13]
.LBB9_1307:
	s_or_b64 exec, exec, s[4:5]
	s_lshr_b32 s0, s33, 16
	v_mov_b32_e32 v5, s11
	s_and_b32 s36, s0, 0xff
	v_add_co_u32_e32 v4, vcc, s10, v9
	s_cmp_lt_i32 s36, 11
	v_addc_co_u32_e32 v5, vcc, 0, v5, vcc
	s_cbranch_scc1 .LBB9_1314
; %bb.1308:
	s_and_b32 s18, 0xffff, s36
	s_cmp_gt_i32 s18, 25
	s_mov_b64 s[4:5], 0
	s_cbranch_scc0 .LBB9_1316
; %bb.1309:
	s_cmp_gt_i32 s18, 28
	s_cbranch_scc0 .LBB9_1317
; %bb.1310:
	s_cmp_gt_i32 s18, 43
	;; [unrolled: 3-line block ×3, first 2 shown]
	s_cbranch_scc0 .LBB9_1320
; %bb.1312:
	s_cmp_eq_u32 s18, 46
	s_mov_b64 s[14:15], 0
	s_cbranch_scc0 .LBB9_1323
; %bb.1313:
	global_load_dword v8, v[4:5], off
	s_mov_b64 s[0:1], 0
	s_mov_b64 s[12:13], -1
	s_waitcnt vmcnt(0)
	v_lshlrev_b32_e32 v8, 16, v8
	v_cvt_f64_f32_e32 v[8:9], v8
	s_branch .LBB9_1324
.LBB9_1314:
	s_mov_b64 s[12:13], 0
                                        ; implicit-def: $vgpr8_vgpr9
	s_cbranch_execnz .LBB9_1389
.LBB9_1315:
	s_andn2_b64 vcc, exec, s[12:13]
	s_cbranch_vccnz .LBB9_1797
	s_branch .LBB9_1436
.LBB9_1316:
	s_mov_b64 s[12:13], 0
	s_mov_b64 s[0:1], 0
                                        ; implicit-def: $vgpr8_vgpr9
	s_cbranch_execnz .LBB9_1355
	s_branch .LBB9_1385
.LBB9_1317:
	s_mov_b64 s[14:15], -1
	s_mov_b64 s[12:13], 0
	s_mov_b64 s[0:1], 0
                                        ; implicit-def: $vgpr8_vgpr9
	s_branch .LBB9_1334
.LBB9_1318:
	s_mov_b64 s[14:15], -1
	s_mov_b64 s[12:13], 0
	s_mov_b64 s[0:1], 0
                                        ; implicit-def: $vgpr8_vgpr9
	s_branch .LBB9_1329
.LBB9_1319:
	s_or_b64 s[2:3], s[6:7], exec
	s_trap 2
	s_cbranch_execz .LBB9_1252
	s_branch .LBB9_1253
.LBB9_1320:
	s_mov_b64 s[14:15], -1
	s_mov_b64 s[12:13], 0
	s_mov_b64 s[0:1], 0
                                        ; implicit-def: $vgpr8_vgpr9
	s_branch .LBB9_1324
.LBB9_1321:
	s_andn2_saveexec_b64 s[14:15], s[14:15]
	s_cbranch_execz .LBB9_1043
.LBB9_1322:
	s_mov_b32 s18, 0x42800000
	v_add_f32_e64 v3, |v2|, s18
	v_and_b32_e32 v3, 0xff, v3
	v_cmp_ne_u32_e32 vcc, 0, v3
	s_andn2_b64 s[12:13], s[12:13], exec
	s_and_b64 s[18:19], vcc, exec
	s_or_b64 s[12:13], s[12:13], s[18:19]
	s_or_b64 exec, exec, s[14:15]
	v_mov_b32_e32 v4, 0
	s_and_saveexec_b64 s[14:15], s[12:13]
	s_cbranch_execnz .LBB9_1044
	s_branch .LBB9_1045
.LBB9_1323:
	s_mov_b64 s[0:1], -1
                                        ; implicit-def: $vgpr8_vgpr9
	s_mov_b64 s[12:13], 0
.LBB9_1324:
	s_and_b64 vcc, exec, s[14:15]
	s_cbranch_vccz .LBB9_1328
; %bb.1325:
	s_cmp_eq_u32 s18, 44
	s_cbranch_scc0 .LBB9_1327
; %bb.1326:
	global_load_ubyte v11, v[4:5], off
	s_movk_i32 s12, 0xff
	v_bfrev_b32_e32 v12, 4
	v_mov_b32_e32 v13, 0x7ff80000
	v_bfrev_b32_e32 v15, 28
	s_mov_b64 s[0:1], 0
	s_waitcnt vmcnt(0)
	v_lshlrev_b32_e32 v8, 23, v11
	v_cvt_f64_f32_e32 v[8:9], v8
	v_cmp_ne_u32_e32 vcc, s12, v11
	s_mov_b64 s[12:13], -1
	v_cndmask_b32_e32 v8, v12, v8, vcc
	v_cndmask_b32_e32 v9, v13, v9, vcc
	v_cmp_ne_u32_e32 vcc, 0, v11
	v_cndmask_b32_e32 v9, v15, v9, vcc
	v_cndmask_b32_e32 v8, 0, v8, vcc
	s_branch .LBB9_1328
.LBB9_1327:
	s_mov_b64 s[0:1], -1
                                        ; implicit-def: $vgpr8_vgpr9
.LBB9_1328:
	s_mov_b64 s[14:15], 0
.LBB9_1329:
	s_and_b64 vcc, exec, s[14:15]
	s_cbranch_vccz .LBB9_1333
; %bb.1330:
	s_cmp_eq_u32 s18, 29
	s_cbranch_scc0 .LBB9_1332
; %bb.1331:
	global_load_dwordx2 v[8:9], v[4:5], off
	s_mov_b64 s[0:1], 0
	s_mov_b64 s[12:13], -1
	s_mov_b64 s[14:15], 0
	s_waitcnt vmcnt(0)
	v_cvt_f64_u32_e32 v[11:12], v9
	v_cvt_f64_u32_e32 v[8:9], v8
	v_ldexp_f64 v[11:12], v[11:12], 32
	v_add_f64 v[8:9], v[11:12], v[8:9]
	s_branch .LBB9_1334
.LBB9_1332:
	s_mov_b64 s[0:1], -1
                                        ; implicit-def: $vgpr8_vgpr9
.LBB9_1333:
	s_mov_b64 s[14:15], 0
.LBB9_1334:
	s_and_b64 vcc, exec, s[14:15]
	s_cbranch_vccz .LBB9_1354
; %bb.1335:
	s_cmp_lt_i32 s18, 27
	s_cbranch_scc1 .LBB9_1338
; %bb.1336:
	s_cmp_gt_i32 s18, 27
	s_cbranch_scc0 .LBB9_1339
; %bb.1337:
	global_load_dword v8, v[4:5], off
	s_mov_b64 s[12:13], 0
	s_waitcnt vmcnt(0)
	v_cvt_f64_u32_e32 v[8:9], v8
	s_branch .LBB9_1340
.LBB9_1338:
	s_mov_b64 s[12:13], -1
                                        ; implicit-def: $vgpr8_vgpr9
	s_branch .LBB9_1343
.LBB9_1339:
	s_mov_b64 s[12:13], -1
                                        ; implicit-def: $vgpr8_vgpr9
.LBB9_1340:
	s_andn2_b64 vcc, exec, s[12:13]
	s_cbranch_vccnz .LBB9_1342
; %bb.1341:
	global_load_ushort v8, v[4:5], off
	s_waitcnt vmcnt(0)
	v_cvt_f64_u32_e32 v[8:9], v8
.LBB9_1342:
	s_mov_b64 s[12:13], 0
.LBB9_1343:
	s_andn2_b64 vcc, exec, s[12:13]
	s_cbranch_vccnz .LBB9_1353
; %bb.1344:
	global_load_ubyte v11, v[4:5], off
	s_movk_i32 s12, 0x7f
	s_waitcnt vmcnt(0)
	v_cmp_lt_i16_e32 vcc, s12, v11
	s_mov_b64 s[12:13], 0
	s_and_saveexec_b64 s[14:15], vcc
	s_xor_b64 s[14:15], exec, s[14:15]
	s_cbranch_execz .LBB9_1348
; %bb.1345:
	s_movk_i32 s12, 0x80
	v_cmp_eq_u16_e32 vcc, s12, v11
	s_mov_b64 s[12:13], -1
	s_and_saveexec_b64 s[16:17], vcc
; %bb.1346:
	s_xor_b64 s[12:13], exec, -1
; %bb.1347:
	s_or_b64 exec, exec, s[16:17]
	s_and_b64 s[12:13], s[12:13], exec
.LBB9_1348:
	s_or_saveexec_b64 s[14:15], s[14:15]
	v_bfrev_b32_e32 v8, 4
	v_mov_b32_e32 v9, 0x7ff80000
	s_xor_b64 exec, exec, s[14:15]
; %bb.1349:
	v_cmp_ne_u16_e32 vcc, 0, v11
	v_mov_b32_e32 v8, 0
	s_andn2_b64 s[12:13], s[12:13], exec
	s_and_b64 s[16:17], vcc, exec
	v_mov_b32_e32 v9, 0
	s_or_b64 s[12:13], s[12:13], s[16:17]
; %bb.1350:
	s_or_b64 exec, exec, s[14:15]
	s_and_saveexec_b64 s[14:15], s[12:13]
	s_cbranch_execz .LBB9_1352
; %bb.1351:
	v_and_b32_e32 v9, 0xffff, v11
	v_lshlrev_b32_e32 v8, 24, v11
	v_and_b32_e32 v11, 7, v9
	v_ffbh_u32_e32 v13, v11
	v_min_u32_e32 v13, 32, v13
	v_subrev_u32_e32 v15, 28, v13
	v_bfe_u32 v12, v9, 3, 4
	v_lshlrev_b32_e32 v9, v15, v9
	v_sub_u32_e32 v13, 29, v13
	v_and_b32_e32 v9, 7, v9
	v_cmp_eq_u32_e32 vcc, 0, v12
	v_cndmask_b32_e32 v12, v12, v13, vcc
	v_cndmask_b32_e32 v9, v11, v9, vcc
	v_mov_b32_e32 v11, 0x3b800000
	v_lshlrev_b32_e32 v9, 20, v9
	v_and_b32_e32 v8, 0x80000000, v8
	v_lshl_add_u32 v11, v12, 23, v11
	v_or3_b32 v8, v8, v11, v9
	v_cvt_f64_f32_e32 v[8:9], v8
.LBB9_1352:
	s_or_b64 exec, exec, s[14:15]
.LBB9_1353:
	s_mov_b64 s[12:13], -1
.LBB9_1354:
	s_branch .LBB9_1385
.LBB9_1355:
	s_cmp_gt_i32 s18, 22
	s_cbranch_scc0 .LBB9_1367
; %bb.1356:
	s_cmp_lt_i32 s18, 24
	s_cbranch_scc1 .LBB9_1368
; %bb.1357:
	s_cmp_gt_i32 s18, 24
	s_cbranch_scc0 .LBB9_1369
; %bb.1358:
	global_load_ubyte v11, v[4:5], off
	s_movk_i32 s4, 0x7f
	s_waitcnt vmcnt(0)
	v_cmp_lt_i16_e32 vcc, s4, v11
	s_mov_b64 s[4:5], 0
	s_and_saveexec_b64 s[12:13], vcc
	s_xor_b64 s[12:13], exec, s[12:13]
	s_cbranch_execz .LBB9_1362
; %bb.1359:
	s_movk_i32 s4, 0x80
	v_cmp_eq_u16_e32 vcc, s4, v11
	s_mov_b64 s[4:5], -1
	s_and_saveexec_b64 s[14:15], vcc
; %bb.1360:
	s_xor_b64 s[4:5], exec, -1
; %bb.1361:
	s_or_b64 exec, exec, s[14:15]
	s_and_b64 s[4:5], s[4:5], exec
.LBB9_1362:
	s_or_saveexec_b64 s[12:13], s[12:13]
	v_bfrev_b32_e32 v8, 4
	v_mov_b32_e32 v9, 0x7ff80000
	s_xor_b64 exec, exec, s[12:13]
; %bb.1363:
	v_cmp_ne_u16_e32 vcc, 0, v11
	v_mov_b32_e32 v8, 0
	s_andn2_b64 s[4:5], s[4:5], exec
	s_and_b64 s[14:15], vcc, exec
	v_mov_b32_e32 v9, 0
	s_or_b64 s[4:5], s[4:5], s[14:15]
; %bb.1364:
	s_or_b64 exec, exec, s[12:13]
	s_and_saveexec_b64 s[12:13], s[4:5]
	s_cbranch_execz .LBB9_1366
; %bb.1365:
	v_and_b32_e32 v9, 0xffff, v11
	v_lshlrev_b32_e32 v8, 24, v11
	v_and_b32_e32 v11, 3, v9
	v_ffbh_u32_e32 v13, v11
	v_min_u32_e32 v13, 32, v13
	v_subrev_u32_e32 v15, 29, v13
	v_bfe_u32 v12, v9, 2, 5
	v_lshlrev_b32_e32 v9, v15, v9
	v_sub_u32_e32 v13, 30, v13
	v_and_b32_e32 v9, 3, v9
	v_cmp_eq_u32_e32 vcc, 0, v12
	v_cndmask_b32_e32 v12, v12, v13, vcc
	v_cndmask_b32_e32 v9, v11, v9, vcc
	v_mov_b32_e32 v11, 0x37800000
	v_lshlrev_b32_e32 v9, 21, v9
	v_and_b32_e32 v8, 0x80000000, v8
	v_lshl_add_u32 v11, v12, 23, v11
	v_or3_b32 v8, v8, v11, v9
	v_cvt_f64_f32_e32 v[8:9], v8
.LBB9_1366:
	s_or_b64 exec, exec, s[12:13]
	s_mov_b64 s[4:5], 0
	s_branch .LBB9_1370
.LBB9_1367:
	s_mov_b64 s[4:5], -1
                                        ; implicit-def: $vgpr8_vgpr9
	s_branch .LBB9_1376
.LBB9_1368:
	s_mov_b64 s[4:5], -1
                                        ; implicit-def: $vgpr8_vgpr9
	s_branch .LBB9_1373
.LBB9_1369:
	s_mov_b64 s[4:5], -1
                                        ; implicit-def: $vgpr8_vgpr9
.LBB9_1370:
	s_and_b64 vcc, exec, s[4:5]
	s_cbranch_vccz .LBB9_1372
; %bb.1371:
	global_load_ubyte v8, v[4:5], off
	s_mov_b32 s4, 0x7f800000
	s_waitcnt vmcnt(0)
	v_lshlrev_b32_e32 v8, 24, v8
	v_and_b32_e32 v9, 0x7f000000, v8
	v_ffbh_u32_e32 v11, v9
	v_min_u32_e32 v11, 32, v11
	v_sub_u32_e64 v11, v11, 4 clamp
	v_lshlrev_b32_e32 v13, v11, v9
	v_lshlrev_b32_e32 v11, 23, v11
	v_lshrrev_b32_e32 v13, 4, v13
	v_add_u32_e32 v12, 0x1000000, v9
	v_sub_u32_e32 v11, v13, v11
	v_ashrrev_i32_e32 v12, 8, v12
	v_add_u32_e32 v11, 0x3c000000, v11
	v_and_or_b32 v11, v12, s4, v11
	v_cmp_ne_u32_e32 vcc, 0, v9
	v_cndmask_b32_e32 v9, 0, v11, vcc
	s_brev_b32 s4, 1
	v_and_or_b32 v8, v8, s4, v9
	v_cvt_f64_f32_e32 v[8:9], v8
.LBB9_1372:
	s_mov_b64 s[4:5], 0
.LBB9_1373:
	s_andn2_b64 vcc, exec, s[4:5]
	s_cbranch_vccnz .LBB9_1375
; %bb.1374:
	global_load_ubyte v8, v[4:5], off
	s_movk_i32 s4, 0x7f00
	s_brev_b32 s5, 16
	s_waitcnt vmcnt(0)
	v_lshlrev_b16_e32 v9, 8, v8
	v_lshlrev_b32_e32 v8, 25, v8
	v_lshrrev_b32_e32 v11, 4, v8
	v_and_or_b32 v12, v9, s4, 0.5
	v_or_b32_e32 v11, 0x70000000, v11
	v_add_f32_e32 v12, -0.5, v12
	v_mul_f32_e32 v11, 0x7800000, v11
	v_cmp_gt_u32_e32 vcc, s5, v8
	v_bfe_i32 v9, v9, 0, 16
	v_cndmask_b32_e32 v8, v11, v12, vcc
	s_brev_b32 s4, 1
	v_and_or_b32 v8, v9, s4, v8
	v_cvt_f64_f32_e32 v[8:9], v8
.LBB9_1375:
	s_mov_b64 s[4:5], 0
	s_mov_b64 s[12:13], -1
.LBB9_1376:
	s_andn2_b64 vcc, exec, s[4:5]
	s_mov_b64 s[4:5], 0
	s_cbranch_vccnz .LBB9_1385
; %bb.1377:
	s_cmp_gt_i32 s18, 14
	s_cbranch_scc0 .LBB9_1380
; %bb.1378:
	s_cmp_eq_u32 s18, 15
	s_cbranch_scc0 .LBB9_1381
; %bb.1379:
	global_load_ushort v8, v[4:5], off
	s_mov_b64 s[0:1], 0
	s_mov_b64 s[12:13], -1
	s_waitcnt vmcnt(0)
	v_lshlrev_b32_e32 v8, 16, v8
	v_cvt_f64_f32_e32 v[8:9], v8
	s_branch .LBB9_1382
.LBB9_1380:
	s_mov_b64 s[14:15], -1
                                        ; implicit-def: $vgpr8_vgpr9
	s_branch .LBB9_1383
.LBB9_1381:
	s_mov_b64 s[0:1], -1
                                        ; implicit-def: $vgpr8_vgpr9
.LBB9_1382:
	s_mov_b64 s[14:15], 0
.LBB9_1383:
	s_and_b64 vcc, exec, s[14:15]
	s_cbranch_vccz .LBB9_1385
; %bb.1384:
	s_cmp_lg_u32 s18, 11
	s_mov_b64 s[4:5], -1
	s_cselect_b64 s[0:1], -1, 0
.LBB9_1385:
	s_and_b64 vcc, exec, s[0:1]
	s_cbranch_vccnz .LBB9_1456
; %bb.1386:
	s_andn2_b64 vcc, exec, s[4:5]
	s_cbranch_vccnz .LBB9_1388
.LBB9_1387:
	global_load_ubyte v9, v[4:5], off
	v_mov_b32_e32 v11, 0x3ff00000
	v_mov_b32_e32 v8, 0
	s_mov_b64 s[12:13], -1
	s_waitcnt vmcnt(0)
	v_cmp_ne_u16_e32 vcc, 0, v9
	v_cndmask_b32_e32 v9, 0, v11, vcc
.LBB9_1388:
	s_branch .LBB9_1315
.LBB9_1389:
	s_and_b32 s4, 0xffff, s36
	s_cmp_lt_i32 s4, 5
	s_cbranch_scc1 .LBB9_1394
; %bb.1390:
	s_cmp_lt_i32 s4, 8
	s_cbranch_scc1 .LBB9_1395
; %bb.1391:
	;; [unrolled: 3-line block ×3, first 2 shown]
	s_cmp_gt_i32 s4, 9
	s_cbranch_scc0 .LBB9_1397
; %bb.1393:
	global_load_dwordx2 v[8:9], v[4:5], off
	s_mov_b64 s[0:1], 0
	s_branch .LBB9_1398
.LBB9_1394:
                                        ; implicit-def: $vgpr8_vgpr9
	s_branch .LBB9_1416
.LBB9_1395:
	s_mov_b64 s[0:1], -1
                                        ; implicit-def: $vgpr8_vgpr9
	s_branch .LBB9_1404
.LBB9_1396:
	s_mov_b64 s[0:1], -1
                                        ; implicit-def: $vgpr8_vgpr9
	s_branch .LBB9_1401
.LBB9_1397:
	s_mov_b64 s[0:1], -1
                                        ; implicit-def: $vgpr8_vgpr9
.LBB9_1398:
	s_andn2_b64 vcc, exec, s[0:1]
	s_cbranch_vccnz .LBB9_1400
; %bb.1399:
	global_load_dword v8, v[4:5], off
	s_waitcnt vmcnt(0)
	v_cvt_f64_f32_e32 v[8:9], v8
.LBB9_1400:
	s_mov_b64 s[0:1], 0
.LBB9_1401:
	s_andn2_b64 vcc, exec, s[0:1]
	s_cbranch_vccnz .LBB9_1403
; %bb.1402:
	global_load_dword v8, v[4:5], off
	s_waitcnt vmcnt(0)
	v_cvt_f32_f16_e32 v8, v8
	v_cvt_f64_f32_e32 v[8:9], v8
.LBB9_1403:
	s_mov_b64 s[0:1], 0
.LBB9_1404:
	s_andn2_b64 vcc, exec, s[0:1]
	s_cbranch_vccnz .LBB9_1415
; %bb.1405:
	s_cmp_lt_i32 s4, 6
	s_cbranch_scc1 .LBB9_1408
; %bb.1406:
	s_cmp_gt_i32 s4, 6
	s_cbranch_scc0 .LBB9_1409
; %bb.1407:
	global_load_dwordx2 v[8:9], v[4:5], off
	s_mov_b64 s[0:1], 0
	s_branch .LBB9_1410
.LBB9_1408:
	s_mov_b64 s[0:1], -1
                                        ; implicit-def: $vgpr8_vgpr9
	s_branch .LBB9_1413
.LBB9_1409:
	s_mov_b64 s[0:1], -1
                                        ; implicit-def: $vgpr8_vgpr9
.LBB9_1410:
	s_andn2_b64 vcc, exec, s[0:1]
	s_cbranch_vccnz .LBB9_1412
; %bb.1411:
	global_load_dword v8, v[4:5], off
	s_waitcnt vmcnt(0)
	v_cvt_f64_f32_e32 v[8:9], v8
.LBB9_1412:
	s_mov_b64 s[0:1], 0
.LBB9_1413:
	s_andn2_b64 vcc, exec, s[0:1]
	s_cbranch_vccnz .LBB9_1415
; %bb.1414:
	global_load_ushort v8, v[4:5], off
	s_waitcnt vmcnt(0)
	v_cvt_f32_f16_e32 v8, v8
	v_cvt_f64_f32_e32 v[8:9], v8
.LBB9_1415:
	s_cbranch_execnz .LBB9_1435
.LBB9_1416:
	s_cmp_lt_i32 s4, 2
	s_cbranch_scc1 .LBB9_1420
; %bb.1417:
	s_cmp_lt_i32 s4, 3
	s_cbranch_scc1 .LBB9_1421
; %bb.1418:
	s_cmp_gt_i32 s4, 3
	s_cbranch_scc0 .LBB9_1422
; %bb.1419:
	global_load_dwordx2 v[8:9], v[4:5], off
	s_mov_b64 s[0:1], 0
	s_waitcnt vmcnt(0)
	v_cvt_f64_i32_e32 v[11:12], v9
	v_cvt_f64_u32_e32 v[8:9], v8
	v_ldexp_f64 v[11:12], v[11:12], 32
	v_add_f64 v[8:9], v[11:12], v[8:9]
	s_branch .LBB9_1423
.LBB9_1420:
	s_mov_b64 s[0:1], -1
                                        ; implicit-def: $vgpr8_vgpr9
	s_branch .LBB9_1429
.LBB9_1421:
	s_mov_b64 s[0:1], -1
                                        ; implicit-def: $vgpr8_vgpr9
	s_branch .LBB9_1426
.LBB9_1422:
	s_mov_b64 s[0:1], -1
                                        ; implicit-def: $vgpr8_vgpr9
.LBB9_1423:
	s_andn2_b64 vcc, exec, s[0:1]
	s_cbranch_vccnz .LBB9_1425
; %bb.1424:
	global_load_dword v8, v[4:5], off
	s_waitcnt vmcnt(0)
	v_cvt_f64_i32_e32 v[8:9], v8
.LBB9_1425:
	s_mov_b64 s[0:1], 0
.LBB9_1426:
	s_andn2_b64 vcc, exec, s[0:1]
	s_cbranch_vccnz .LBB9_1428
; %bb.1427:
	global_load_sshort v8, v[4:5], off
	s_waitcnt vmcnt(0)
	v_cvt_f64_i32_e32 v[8:9], v8
.LBB9_1428:
	s_mov_b64 s[0:1], 0
.LBB9_1429:
	s_andn2_b64 vcc, exec, s[0:1]
	s_cbranch_vccnz .LBB9_1435
; %bb.1430:
	s_cmp_gt_i32 s4, 0
	s_cbranch_scc0 .LBB9_1432
; %bb.1431:
	global_load_sbyte v8, v[4:5], off
	s_mov_b64 s[0:1], 0
	s_waitcnt vmcnt(0)
	v_cvt_f64_i32_e32 v[8:9], v8
	s_branch .LBB9_1433
.LBB9_1432:
	s_mov_b64 s[0:1], -1
                                        ; implicit-def: $vgpr8_vgpr9
.LBB9_1433:
	s_andn2_b64 vcc, exec, s[0:1]
	s_cbranch_vccnz .LBB9_1435
; %bb.1434:
	global_load_ubyte v4, v[4:5], off
	s_waitcnt vmcnt(0)
	v_cvt_f64_u32_e32 v[8:9], v4
.LBB9_1435:
.LBB9_1436:
	s_waitcnt vmcnt(0)
	v_cmp_neq_f64_e32 vcc, 0, v[8:9]
	v_mov_b32_e32 v4, 0
	v_mov_b32_e32 v5, 0x7ff00000
	s_and_saveexec_b64 s[4:5], vcc
	s_cbranch_execz .LBB9_1444
; %bb.1437:
	v_cmp_ngt_f64_e32 vcc, 0, v[8:9]
	v_mov_b32_e32 v4, 0
	v_mov_b32_e32 v5, 0x7ff80000
	s_and_saveexec_b64 s[12:13], vcc
	s_cbranch_execz .LBB9_1443
; %bb.1438:
	v_cmp_ge_f64_e32 vcc, 2.0, v[8:9]
                                        ; implicit-def: $vgpr4_vgpr5
	s_and_saveexec_b64 s[0:1], vcc
	s_xor_b64 s[14:15], exec, s[0:1]
	s_cbranch_execz .LBB9_1440
; %bb.1439:
	v_fma_f64 v[4:5], v[8:9], 0.5, -2.0
	v_mov_b32_e32 v11, 0x977da589
	v_mov_b32_e32 v12, 0x3c833362
	s_mov_b32 s1, 0xbc545cb7
	s_mov_b32 s0, 0x2134d0ef
	;; [unrolled: 1-line block ×5, first 2 shown]
	v_fma_f64 v[11:12], v[4:5], s[0:1], v[11:12]
	s_mov_b32 s1, 0x3c545cb7
	s_mov_b32 s19, 0x3fc3ab76
	;; [unrolled: 1-line block ×7, first 2 shown]
	v_fma_f64 v[15:16], v[4:5], v[11:12], s[0:1]
	s_mov_b32 s0, 0x721ebbb4
	s_mov_b32 s1, 0xbcb184eb
	;; [unrolled: 1-line block ×7, first 2 shown]
	v_add_f64 v[15:16], v[15:16], s[0:1]
	s_mov_b32 s0, 0x93f65eba
	s_mov_b32 s1, 0x3cdee6d8
	;; [unrolled: 1-line block ×7, first 2 shown]
	v_fma_f64 v[11:12], v[4:5], v[15:16], -v[11:12]
	s_mov_b32 s41, 0xbf984e9e
	v_mov_b32_e32 v33, 0xfca7ab0c
	v_mov_b32_e32 v34, 0x3e928af3
	s_mov_b32 s42, 0xe7f95efc
	s_mov_b32 s43, 0x3e9102bc
	v_add_f64 v[11:12], v[11:12], s[0:1]
	s_mov_b32 s0, 0xc297fbeb
	s_mov_b32 s1, 0xbd0a5022
	v_fma_f64 v[15:16], v[4:5], v[11:12], -v[15:16]
	v_add_f64 v[15:16], v[15:16], s[0:1]
	s_mov_b32 s0, 0x4b262627
	s_mov_b32 s1, 0x3d359b46
	v_fma_f64 v[11:12], v[4:5], v[15:16], -v[11:12]
	;; [unrolled: 4-line block ×4, first 2 shown]
	v_add_f64 v[17:18], v[11:12], s[0:1]
	v_mul_f64 v[11:12], v[8:9], 0.5
	s_mov_b32 s1, 0x3fe55555
	s_mov_b32 s0, 0x55555555
	v_fma_f64 v[15:16], v[4:5], v[17:18], -v[15:16]
	v_frexp_mant_f64_e32 v[19:20], v[11:12]
	v_add_f64 v[15:16], v[15:16], s[16:17]
	v_cmp_gt_f64_e32 vcc, s[0:1], v[19:20]
	s_mov_b32 s16, 0xcc743c10
	s_mov_b32 s17, 0x3dda98be
	;; [unrolled: 1-line block ×3, first 2 shown]
	v_fma_f64 v[17:18], v[4:5], v[15:16], -v[17:18]
	v_cndmask_b32_e64 v13, 0, 1, vcc
	v_ldexp_f64 v[19:20], v[19:20], v13
	v_frexp_exp_i32_f64_e32 v13, v[11:12]
	v_add_f64 v[17:18], v[17:18], s[16:17]
	s_mov_b32 s16, 0x13ae9556
	v_add_f64 v[21:22], v[19:20], 1.0
	s_mov_b32 s17, 0xbe01d4fe
	v_add_f64 v[27:28], v[19:20], -1.0
	v_subbrev_co_u32_e32 v13, vcc, 0, v13, vcc
	v_cvt_f64_i32_e32 v[39:40], v13
	v_fma_f64 v[15:16], v[4:5], v[17:18], -v[15:16]
	v_rcp_f64_e32 v[23:24], v[21:22]
	v_add_f64 v[29:30], v[21:22], -1.0
	v_add_f64 v[15:16], v[15:16], s[16:17]
	s_mov_b32 s16, 0xa454cb34
	s_mov_b32 s17, 0x3e26d903
	v_add_f64 v[19:20], v[19:20], -v[29:30]
	v_fma_f64 v[17:18], v[4:5], v[15:16], -v[17:18]
	v_fma_f64 v[25:26], -v[21:22], v[23:24], 1.0
	v_fma_f64 v[23:24], v[25:26], v[23:24], v[23:24]
	v_add_f64 v[25:26], v[17:18], s[16:17]
	s_mov_b32 s16, 0x8c0b30ab
	s_mov_b32 s17, 0xbe4beaf6
	v_fma_f64 v[17:18], -v[21:22], v[23:24], 1.0
	v_fma_f64 v[15:16], v[4:5], v[25:26], -v[15:16]
	v_fma_f64 v[23:24], v[17:18], v[23:24], v[23:24]
	v_add_f64 v[15:16], v[15:16], s[16:17]
	s_mov_b32 s16, 0x9d4d6435
	s_mov_b32 s17, 0x3e703b76
	v_mul_f64 v[17:18], v[27:28], v[23:24]
	v_fma_f64 v[25:26], v[4:5], v[15:16], -v[25:26]
	v_mul_f64 v[31:32], v[21:22], v[17:18]
	v_add_f64 v[25:26], v[25:26], s[16:17]
	s_mov_b32 s16, 0x8f227f8d
	s_mov_b32 s17, 0xbe91ec63
	v_fma_f64 v[21:22], v[17:18], v[21:22], -v[31:32]
	v_fma_f64 v[15:16], v[4:5], v[25:26], -v[15:16]
	v_fma_f64 v[19:20], v[17:18], v[19:20], v[21:22]
	v_add_f64 v[15:16], v[15:16], s[16:17]
	s_mov_b32 s16, 0x978cf4ac
	s_mov_b32 s17, 0x3eb2bf24
	v_add_f64 v[21:22], v[31:32], v[19:20]
	v_fma_f64 v[25:26], v[4:5], v[15:16], -v[25:26]
	v_add_f64 v[29:30], v[27:28], -v[21:22]
	v_add_f64 v[25:26], v[25:26], s[16:17]
	v_add_f64 v[31:32], v[21:22], -v[31:32]
	s_mov_b32 s16, 0xcba56427
	s_mov_b32 s17, 0xbed2866f
	v_add_f64 v[27:28], v[27:28], -v[29:30]
	v_fma_f64 v[15:16], v[4:5], v[25:26], -v[15:16]
	v_add_f64 v[19:20], v[31:32], -v[19:20]
	v_mov_b32_e32 v31, 0xc384c2aa
	v_mov_b32_e32 v32, 0x3d27fb0a
	v_add_f64 v[21:22], v[27:28], -v[21:22]
	v_add_f64 v[15:16], v[15:16], s[16:17]
	s_mov_b32 s16, 0xbe9a2859
	s_mov_b32 s17, 0x3ef13f58
	v_add_f64 v[19:20], v[19:20], v[21:22]
	v_fma_f64 v[21:22], v[4:5], v[15:16], -v[25:26]
	v_add_f64 v[19:20], v[29:30], v[19:20]
	v_add_f64 v[25:26], v[21:22], s[16:17]
	s_mov_b32 s16, 0x59c41d5a
	s_mov_b32 s17, 0xbf0e2b26
	v_mul_f64 v[19:20], v[23:24], v[19:20]
	v_fma_f64 v[15:16], v[4:5], v[25:26], -v[15:16]
	v_mov_b32_e32 v23, 0x6b47b09a
	v_mov_b32_e32 v24, 0x3fc38538
	v_add_f64 v[21:22], v[17:18], v[19:20]
	v_add_f64 v[15:16], v[15:16], s[16:17]
	s_mov_b32 s17, 0x3fe62e42
	s_mov_b32 s16, 0xfefa39ef
	v_mul_f64 v[41:42], v[39:40], s[16:17]
	v_mul_f64 v[27:28], v[21:22], v[21:22]
	v_fma_f64 v[25:26], v[4:5], v[15:16], -v[25:26]
	v_add_f64 v[17:18], v[21:22], -v[17:18]
	v_fma_f64 v[23:24], v[27:28], s[18:19], v[23:24]
	s_mov_b32 s18, 0x74107cab
	s_mov_b32 s19, 0x3f28b51b
	v_add_f64 v[25:26], v[25:26], s[18:19]
	v_mul_f64 v[35:36], v[21:22], v[27:28]
	v_add_f64 v[19:20], v[19:20], -v[17:18]
	s_mov_b32 s19, 0x3c7abc9e
	s_mov_b32 s18, 0x3b39803f
	v_fma_f64 v[23:24], v[27:28], v[23:24], s[20:21]
	s_mov_b32 s20, 0x8a12100e
	s_mov_b32 s21, 0x3f5adc75
	v_fma_f64 v[29:30], v[4:5], v[25:26], -v[15:16]
	v_fma_f64 v[15:16], v[8:9], v[8:9], -2.0
	v_ldexp_f64 v[19:20], v[19:20], 1
	v_fma_f64 v[23:24], v[27:28], v[23:24], s[22:23]
	s_mov_b32 s23, 0x3ca3cee1
	s_mov_b32 s22, 0xe6a7fd77
	v_add_f64 v[29:30], v[29:30], s[30:31]
	s_mov_b32 s30, 0x652b82fe
	s_mov_b32 s31, 0x3ff71547
	v_fma_f64 v[23:24], v[27:28], v[23:24], s[24:25]
	s_mov_b32 s24, 0xf3dde3dd
	s_mov_b32 s25, 0x3f859961
	v_fma_f64 v[25:26], v[4:5], v[29:30], -v[25:26]
	v_fma_f64 v[23:24], v[27:28], v[23:24], s[26:27]
	s_mov_b32 s26, 0x67e58a13
	s_mov_b32 s27, 0x3e205c13
	v_add_f64 v[25:26], v[25:26], s[20:21]
	s_mov_b32 s20, 0xcea8a32d
	s_mov_b32 s21, 0x3fa93e8a
	v_fma_f64 v[23:24], v[27:28], v[23:24], s[0:1]
	s_mov_b32 s0, 0x6a5dcb37
	s_mov_b32 s1, 0x3e5ade15
	v_fma_f64 v[27:28], v[4:5], v[25:26], -v[29:30]
	v_fma_f64 v[29:30], v[15:16], s[22:23], v[31:32]
	v_ldexp_f64 v[31:32], v[21:22], 1
	s_mov_b32 s23, 0xbca3cee1
	v_mul_f64 v[23:24], v[35:36], v[23:24]
	v_mul_f64 v[35:36], v[8:9], s[30:31]
	v_add_f64 v[27:28], v[27:28], s[34:35]
	v_fma_f64 v[37:38], v[15:16], v[29:30], s[22:23]
	s_mov_b32 s22, 0x623fde64
	s_mov_b32 s23, 0x3ec71dee
	v_add_f64 v[21:22], v[31:32], v[23:24]
	v_rndne_f64_e32 v[17:18], v[35:36]
	v_fma_f64 v[35:36], v[39:40], s[16:17], -v[41:42]
	v_fma_f64 v[25:26], v[4:5], v[27:28], -v[25:26]
	v_add_f64 v[37:38], v[37:38], s[38:39]
	s_mov_b32 s17, 0xbfe62e42
	v_add_f64 v[31:32], v[21:22], -v[31:32]
	v_fma_f64 v[8:9], v[17:18], s[16:17], v[8:9]
	s_mov_b32 s16, 0x7c89e6b0
	v_add_f64 v[25:26], v[25:26], s[24:25]
	v_fma_f64 v[29:30], v[15:16], v[37:38], -v[29:30]
	s_mov_b32 s17, 0x3efa0199
	s_mov_b32 s24, 0x342d06ea
	;; [unrolled: 1-line block ×3, first 2 shown]
	v_add_f64 v[23:24], v[23:24], -v[31:32]
	v_fma_f64 v[31:32], v[39:40], s[18:19], v[35:36]
	s_mov_b32 s19, 0xbc7abc9e
	v_fma_f64 v[27:28], v[4:5], v[25:26], -v[27:28]
	v_add_f64 v[29:30], v[29:30], s[26:27]
	v_fma_f64 v[8:9], v[17:18], s[18:19], v[8:9]
	s_mov_b32 s18, 0xfe8cfca0
	s_mov_b32 s19, 0x3ef7f900
	v_add_f64 v[19:20], v[19:20], v[23:24]
	s_mov_b32 s26, 0x1852b7b0
	s_mov_b32 s27, 0x3f56c16c
	v_add_f64 v[23:24], v[27:28], s[40:41]
	v_add_f64 v[27:28], v[41:42], v[31:32]
	v_fma_f64 v[37:38], v[15:16], v[29:30], -v[37:38]
	v_fma_f64 v[33:34], v[8:9], s[0:1], v[33:34]
	s_mov_b32 s0, 0x14761f6e
	v_add_f64 v[35:36], v[21:22], v[19:20]
	s_mov_b32 s1, 0x3f2a01a0
	v_cvt_i32_f64_e32 v13, v[17:18]
	v_fma_f64 v[25:26], v[4:5], v[23:24], -v[25:26]
	v_add_f64 v[41:42], v[27:28], -v[41:42]
	v_add_f64 v[37:38], v[37:38], s[42:43]
	v_fma_f64 v[33:34], v[8:9], v[33:34], s[22:23]
	s_mov_b32 s22, 0x75633d73
	v_add_f64 v[39:40], v[27:28], v[35:36]
	v_add_f64 v[21:22], v[35:36], -v[21:22]
	s_mov_b32 s23, 0x3f54b82e
	v_add_f64 v[25:26], v[25:26], s[20:21]
	s_mov_b32 s20, 0x77ac88c0
	v_fma_f64 v[29:30], v[15:16], v[37:38], -v[29:30]
	v_fma_f64 v[33:34], v[8:9], v[33:34], s[16:17]
	s_mov_b32 s16, 0x11122322
	v_add_f64 v[43:44], v[39:40], -v[27:28]
	v_add_f64 v[19:20], v[19:20], -v[21:22]
	;; [unrolled: 1-line block ×3, first 2 shown]
	v_fma_f64 v[23:24], v[4:5], v[25:26], -v[23:24]
	s_mov_b32 s21, 0x3fc5f7ac
	v_add_f64 v[29:30], v[29:30], s[18:19]
	v_fma_f64 v[33:34], v[8:9], v[33:34], s[0:1]
	s_mov_b32 s17, 0x3f811111
	v_add_f64 v[45:46], v[39:40], -v[43:44]
	v_add_f64 v[21:22], v[35:36], -v[43:44]
	s_mov_b32 s0, 0x555502a1
	v_add_f64 v[23:24], v[23:24], s[24:25]
	s_mov_b32 s1, 0x3fa55555
	v_fma_f64 v[35:36], v[15:16], v[29:30], -v[37:38]
	v_fma_f64 v[33:34], v[8:9], v[33:34], s[26:27]
	v_add_f64 v[37:38], v[31:32], v[19:20]
	v_add_f64 v[27:28], v[27:28], -v[45:46]
	s_mov_b32 s18, 0xc057cd8d
	s_mov_b32 s19, 0xbfd37feb
	v_fma_f64 v[25:26], v[4:5], v[23:24], -v[25:26]
	v_fma_f64 v[33:34], v[8:9], v[33:34], s[16:17]
	s_mov_b32 s16, 0x554a9085
	v_add_f64 v[21:22], v[21:22], v[27:28]
	v_add_f64 v[27:28], v[35:36], s[22:23]
	v_add_f64 v[35:36], v[37:38], -v[31:32]
	v_add_f64 v[25:26], v[25:26], s[20:21]
	s_mov_b32 s17, 0x3fa26bf6
	s_mov_b32 s20, 11
	v_fma_f64 v[33:34], v[8:9], v[33:34], s[0:1]
	s_mov_b32 s0, 0x55555511
	v_add_f64 v[21:22], v[37:38], v[21:22]
	v_fma_f64 v[29:30], v[15:16], v[27:28], -v[29:30]
	s_mov_b32 s1, 0x3fc55555
	v_fma_f64 v[23:24], v[4:5], v[25:26], -v[23:24]
	v_add_f64 v[37:38], v[37:38], -v[35:36]
	s_mov_b32 s21, 0x3fe00000
	v_fma_f64 v[33:34], v[8:9], v[33:34], s[0:1]
	s_mov_b32 s0, 0x81213db9
	v_add_f64 v[41:42], v[39:40], v[21:22]
	v_add_f64 v[29:30], v[29:30], s[16:17]
	v_add_f64 v[19:20], v[19:20], -v[35:36]
	v_add_f64 v[23:24], v[23:24], s[18:19]
	v_add_f64 v[31:32], v[31:32], -v[37:38]
	s_mov_b32 s16, 0x9035a22a
	v_fma_f64 v[33:34], v[8:9], v[33:34], s[20:21]
	s_mov_b32 s1, 0x3fd608d8
	v_add_f64 v[35:36], v[41:42], -v[39:40]
	v_fma_f64 v[27:28], v[15:16], v[29:30], -v[27:28]
	s_mov_b32 s17, 0x3fe5a84e
	v_fma_f64 v[4:5], v[4:5], v[23:24], -v[25:26]
	v_add_f64 v[19:20], v[19:20], v[31:32]
	v_add_f64 v[21:22], v[21:22], -v[35:36]
	v_add_f64 v[23:24], v[27:28], s[0:1]
	v_fma_f64 v[27:28], v[8:9], v[33:34], 1.0
	v_add_f64 v[4:5], v[4:5], s[16:17]
	s_mov_b32 s0, 0xe9d2f61f
	s_mov_b32 s1, 0xbfe12166
	v_add_f64 v[19:20], v[19:20], v[21:22]
	v_fma_f64 v[15:16], v[15:16], v[23:24], -v[29:30]
	v_fma_f64 v[8:9], v[8:9], v[27:28], 1.0
	v_add_f64 v[4:5], v[4:5], -v[25:26]
	v_add_f64 v[17:18], v[41:42], v[19:20]
	v_add_f64 v[15:16], v[15:16], s[0:1]
	v_ldexp_f64 v[8:9], v[8:9], v13
	v_mul_f64 v[4:5], v[4:5], 0.5
	s_mov_b32 s0, 0
	s_mov_b32 s1, 0x7ff00000
	v_cmp_neq_f64_e32 vcc, s[0:1], v[11:12]
	v_cmp_neq_f64_e64 s[0:1], 0, v[11:12]
	v_mov_b32_e32 v13, 0x7ff00000
	v_add_f64 v[11:12], v[15:16], -v[29:30]
	v_mul_f64 v[4:5], v[8:9], v[4:5]
	v_cndmask_b32_e32 v13, v13, v18, vcc
	v_mov_b32_e32 v18, 0xfff00000
	s_and_b64 vcc, s[0:1], vcc
	v_cndmask_b32_e64 v16, v18, v13, s[0:1]
	v_cndmask_b32_e32 v15, 0, v17, vcc
	v_mul_f64 v[4:5], v[15:16], v[4:5]
	v_fma_f64 v[4:5], v[11:12], 0.5, -v[4:5]
	v_mul_f64 v[4:5], v[8:9], v[4:5]
                                        ; implicit-def: $vgpr8_vgpr9
.LBB9_1440:
	s_andn2_saveexec_b64 s[0:1], s[14:15]
	s_cbranch_execz .LBB9_1442
; %bb.1441:
	s_mov_b32 s14, 0
	s_mov_b32 s15, 0x40200000
	v_div_scale_f64 v[4:5], s[16:17], v[8:9], v[8:9], s[14:15]
	v_mov_b32_e32 v13, 0x100
	v_rcp_f64_e32 v[11:12], v[4:5]
	v_fma_f64 v[15:16], -v[4:5], v[11:12], 1.0
	v_fma_f64 v[11:12], v[11:12], v[15:16], v[11:12]
	v_div_scale_f64 v[15:16], vcc, s[14:15], v[8:9], s[14:15]
	v_fma_f64 v[17:18], -v[4:5], v[11:12], 1.0
	v_fma_f64 v[11:12], v[11:12], v[17:18], v[11:12]
	v_mul_f64 v[17:18], v[15:16], v[11:12]
	v_fma_f64 v[4:5], -v[4:5], v[17:18], v[15:16]
	v_div_fmas_f64 v[4:5], v[4:5], v[11:12], v[17:18]
	v_mov_b32_e32 v11, 0x93812603
	v_mov_b32_e32 v12, 0xbc72fecc
	v_div_fixup_f64 v[4:5], v[4:5], v[8:9], s[14:15]
	s_mov_b32 s15, 0x3c5871a5
	s_mov_b32 s14, 0xcf8c9ee1
	v_add_f64 v[4:5], v[4:5], -2.0
	v_fma_f64 v[11:12], v[4:5], s[14:15], v[11:12]
	s_mov_b32 s15, 0xbc5871a5
	v_fma_f64 v[15:16], v[4:5], v[11:12], s[14:15]
	s_mov_b32 s14, 0x41a8cdf4
	s_mov_b32 s15, 0x3c8e092e
	v_add_f64 v[15:16], v[15:16], s[14:15]
	s_mov_b32 s14, 0x74d77641
	s_mov_b32 s15, 0xbca82f94
	v_fma_f64 v[11:12], v[4:5], v[15:16], -v[11:12]
	v_add_f64 v[11:12], v[11:12], s[14:15]
	s_mov_b32 s14, 0x6b94785b
	s_mov_b32 s15, 0x3cc3dbf9
	v_fma_f64 v[15:16], v[4:5], v[11:12], -v[15:16]
	;; [unrolled: 4-line block ×17, first 2 shown]
	v_add_f64 v[11:12], v[11:12], s[14:15]
	s_mov_b32 s14, 0
	s_brev_b32 s15, 8
	v_cmp_gt_f64_e32 vcc, s[14:15], v[8:9]
	s_mov_b32 s14, 0xcc7470a9
	s_mov_b32 s15, 0x3eed413f
	v_fma_f64 v[15:16], v[4:5], v[11:12], -v[15:16]
	v_cndmask_b32_e32 v13, 0, v13, vcc
	v_ldexp_f64 v[8:9], v[8:9], v13
	v_mov_b32_e32 v13, 0xffffff80
	v_cndmask_b32_e32 v13, 0, v13, vcc
	v_add_f64 v[15:16], v[15:16], s[14:15]
	s_mov_b32 s14, 0xe7889f42
	s_mov_b32 s15, 0xbf20d797
	v_rsq_f64_e32 v[17:18], v[8:9]
	v_fma_f64 v[11:12], v[4:5], v[15:16], -v[11:12]
	v_add_f64 v[11:12], v[11:12], s[14:15]
	s_mov_b32 s14, 0xfca79342
	s_mov_b32 s15, 0x3f59b891
	v_mul_f64 v[19:20], v[8:9], v[17:18]
	v_mul_f64 v[17:18], v[17:18], 0.5
	v_fma_f64 v[15:16], v[4:5], v[11:12], -v[15:16]
	v_fma_f64 v[21:22], -v[17:18], v[19:20], 0.5
	v_add_f64 v[15:16], v[15:16], s[14:15]
	s_mov_b32 s14, 0x2d4ff71e
	s_mov_b32 s15, 0xbfa019f7
	v_fma_f64 v[19:20], v[19:20], v[21:22], v[19:20]
	v_fma_f64 v[17:18], v[17:18], v[21:22], v[17:18]
	v_fma_f64 v[11:12], v[4:5], v[15:16], -v[11:12]
	v_fma_f64 v[21:22], -v[19:20], v[19:20], v[8:9]
	v_add_f64 v[11:12], v[11:12], s[14:15]
	s_mov_b32 s14, 0x9f4e6907
	s_mov_b32 s15, 0x400385bd
	v_fma_f64 v[19:20], v[21:22], v[17:18], v[19:20]
	v_fma_f64 v[4:5], v[4:5], v[11:12], -v[15:16]
	v_fma_f64 v[11:12], -v[19:20], v[19:20], v[8:9]
	v_add_f64 v[4:5], v[4:5], s[14:15]
	v_fma_f64 v[11:12], v[11:12], v[17:18], v[19:20]
	v_add_f64 v[4:5], v[4:5], -v[15:16]
	v_mov_b32_e32 v15, 0x260
	v_cmp_class_f64_e32 vcc, v[8:9], v15
	v_ldexp_f64 v[11:12], v[11:12], v13
	v_mul_f64 v[4:5], v[4:5], 0.5
	v_cndmask_b32_e32 v9, v12, v9, vcc
	v_cndmask_b32_e32 v8, v11, v8, vcc
	v_div_scale_f64 v[11:12], s[14:15], v[8:9], v[8:9], v[4:5]
	v_div_scale_f64 v[19:20], vcc, v[4:5], v[8:9], v[4:5]
	v_rcp_f64_e32 v[15:16], v[11:12]
	v_fma_f64 v[17:18], -v[11:12], v[15:16], 1.0
	v_fma_f64 v[15:16], v[15:16], v[17:18], v[15:16]
	v_fma_f64 v[17:18], -v[11:12], v[15:16], 1.0
	v_fma_f64 v[15:16], v[15:16], v[17:18], v[15:16]
	v_mul_f64 v[17:18], v[19:20], v[15:16]
	v_fma_f64 v[11:12], -v[11:12], v[17:18], v[19:20]
	v_div_fmas_f64 v[11:12], v[11:12], v[15:16], v[17:18]
	v_div_fixup_f64 v[4:5], v[11:12], v[8:9], v[4:5]
.LBB9_1442:
	s_or_b64 exec, exec, s[0:1]
.LBB9_1443:
	s_or_b64 exec, exec, s[12:13]
.LBB9_1444:
	s_or_b64 exec, exec, s[4:5]
	v_mov_b32_e32 v8, s11
	v_add_co_u32_e32 v7, vcc, s10, v7
	s_cmp_lt_i32 s36, 11
	v_addc_co_u32_e32 v8, vcc, 0, v8, vcc
	s_cbranch_scc1 .LBB9_1451
; %bb.1445:
	s_and_b32 s18, 0xffff, s36
	s_cmp_gt_i32 s18, 25
	s_mov_b64 s[4:5], 0
	s_cbranch_scc0 .LBB9_1453
; %bb.1446:
	s_cmp_gt_i32 s18, 28
	s_cbranch_scc0 .LBB9_1454
; %bb.1447:
	s_cmp_gt_i32 s18, 43
	;; [unrolled: 3-line block ×3, first 2 shown]
	s_cbranch_scc0 .LBB9_1457
; %bb.1449:
	s_cmp_eq_u32 s18, 46
	s_mov_b64 s[14:15], 0
	s_cbranch_scc0 .LBB9_1458
; %bb.1450:
	global_load_dword v9, v[7:8], off
	s_mov_b64 s[0:1], 0
	s_mov_b64 s[12:13], -1
	s_waitcnt vmcnt(0)
	v_lshlrev_b32_e32 v9, 16, v9
	v_cvt_f64_f32_e32 v[11:12], v9
	s_branch .LBB9_1459
.LBB9_1451:
	s_mov_b64 s[12:13], 0
                                        ; implicit-def: $vgpr11_vgpr12
	s_cbranch_execnz .LBB9_1525
.LBB9_1452:
	s_andn2_b64 vcc, exec, s[12:13]
	s_cbranch_vccnz .LBB9_1797
	s_branch .LBB9_1573
.LBB9_1453:
	s_mov_b64 s[14:15], -1
	s_mov_b64 s[12:13], 0
	s_mov_b64 s[0:1], 0
                                        ; implicit-def: $vgpr11_vgpr12
	s_branch .LBB9_1490
.LBB9_1454:
	s_mov_b64 s[14:15], -1
	s_mov_b64 s[12:13], 0
	s_mov_b64 s[0:1], 0
                                        ; implicit-def: $vgpr11_vgpr12
	s_branch .LBB9_1469
.LBB9_1455:
	s_mov_b64 s[14:15], -1
	s_mov_b64 s[12:13], 0
	s_mov_b64 s[0:1], 0
                                        ; implicit-def: $vgpr11_vgpr12
	s_branch .LBB9_1464
.LBB9_1456:
	s_trap 2
	s_or_b64 s[2:3], s[2:3], exec
	s_cbranch_execz .LBB9_1387
	s_branch .LBB9_1388
.LBB9_1457:
	s_mov_b64 s[14:15], -1
	s_mov_b64 s[12:13], 0
	s_mov_b64 s[0:1], 0
                                        ; implicit-def: $vgpr11_vgpr12
	s_branch .LBB9_1459
.LBB9_1458:
	s_mov_b64 s[0:1], -1
                                        ; implicit-def: $vgpr11_vgpr12
	s_mov_b64 s[12:13], 0
.LBB9_1459:
	s_and_b64 vcc, exec, s[14:15]
	s_cbranch_vccz .LBB9_1463
; %bb.1460:
	s_cmp_eq_u32 s18, 44
	s_cbranch_scc0 .LBB9_1462
; %bb.1461:
	global_load_ubyte v9, v[7:8], off
	s_movk_i32 s12, 0xff
	v_bfrev_b32_e32 v13, 4
	v_mov_b32_e32 v15, 0x7ff80000
	v_bfrev_b32_e32 v16, 28
	s_mov_b64 s[0:1], 0
	s_waitcnt vmcnt(0)
	v_lshlrev_b32_e32 v11, 23, v9
	v_cvt_f64_f32_e32 v[11:12], v11
	v_cmp_ne_u32_e32 vcc, s12, v9
	s_mov_b64 s[12:13], -1
	v_cndmask_b32_e32 v11, v13, v11, vcc
	v_cndmask_b32_e32 v12, v15, v12, vcc
	v_cmp_ne_u32_e32 vcc, 0, v9
	v_cndmask_b32_e32 v12, v16, v12, vcc
	v_cndmask_b32_e32 v11, 0, v11, vcc
	s_branch .LBB9_1463
.LBB9_1462:
	s_mov_b64 s[0:1], -1
                                        ; implicit-def: $vgpr11_vgpr12
.LBB9_1463:
	s_mov_b64 s[14:15], 0
.LBB9_1464:
	s_and_b64 vcc, exec, s[14:15]
	s_cbranch_vccz .LBB9_1468
; %bb.1465:
	s_cmp_eq_u32 s18, 29
	s_cbranch_scc0 .LBB9_1467
; %bb.1466:
	global_load_dwordx2 v[11:12], v[7:8], off
	s_mov_b64 s[0:1], 0
	s_mov_b64 s[12:13], -1
	s_mov_b64 s[14:15], 0
	s_waitcnt vmcnt(0)
	v_cvt_f64_u32_e32 v[12:13], v12
	v_cvt_f64_u32_e32 v[15:16], v11
	v_ldexp_f64 v[12:13], v[12:13], 32
	v_add_f64 v[11:12], v[12:13], v[15:16]
	s_branch .LBB9_1469
.LBB9_1467:
	s_mov_b64 s[0:1], -1
                                        ; implicit-def: $vgpr11_vgpr12
.LBB9_1468:
	s_mov_b64 s[14:15], 0
.LBB9_1469:
	s_and_b64 vcc, exec, s[14:15]
	s_cbranch_vccz .LBB9_1489
; %bb.1470:
	s_cmp_lt_i32 s18, 27
	s_cbranch_scc1 .LBB9_1473
; %bb.1471:
	s_cmp_gt_i32 s18, 27
	s_cbranch_scc0 .LBB9_1474
; %bb.1472:
	global_load_dword v9, v[7:8], off
	s_mov_b64 s[12:13], 0
	s_waitcnt vmcnt(0)
	v_cvt_f64_u32_e32 v[11:12], v9
	s_branch .LBB9_1475
.LBB9_1473:
	s_mov_b64 s[12:13], -1
                                        ; implicit-def: $vgpr11_vgpr12
	s_branch .LBB9_1478
.LBB9_1474:
	s_mov_b64 s[12:13], -1
                                        ; implicit-def: $vgpr11_vgpr12
.LBB9_1475:
	s_andn2_b64 vcc, exec, s[12:13]
	s_cbranch_vccnz .LBB9_1477
; %bb.1476:
	global_load_ushort v9, v[7:8], off
	s_waitcnt vmcnt(0)
	v_cvt_f64_u32_e32 v[11:12], v9
.LBB9_1477:
	s_mov_b64 s[12:13], 0
.LBB9_1478:
	s_andn2_b64 vcc, exec, s[12:13]
	s_cbranch_vccnz .LBB9_1488
; %bb.1479:
	global_load_ubyte v9, v[7:8], off
	s_movk_i32 s12, 0x7f
	s_waitcnt vmcnt(0)
	v_cmp_lt_i16_e32 vcc, s12, v9
	s_mov_b64 s[12:13], 0
	s_and_saveexec_b64 s[14:15], vcc
	s_xor_b64 s[14:15], exec, s[14:15]
	s_cbranch_execz .LBB9_1483
; %bb.1480:
	s_movk_i32 s12, 0x80
	v_cmp_eq_u16_e32 vcc, s12, v9
	s_mov_b64 s[12:13], -1
	s_and_saveexec_b64 s[16:17], vcc
; %bb.1481:
	s_xor_b64 s[12:13], exec, -1
; %bb.1482:
	s_or_b64 exec, exec, s[16:17]
	s_and_b64 s[12:13], s[12:13], exec
.LBB9_1483:
	s_or_saveexec_b64 s[14:15], s[14:15]
	v_bfrev_b32_e32 v11, 4
	v_mov_b32_e32 v12, 0x7ff80000
	s_xor_b64 exec, exec, s[14:15]
; %bb.1484:
	v_cmp_ne_u16_e32 vcc, 0, v9
	v_mov_b32_e32 v11, 0
	s_andn2_b64 s[12:13], s[12:13], exec
	s_and_b64 s[16:17], vcc, exec
	v_mov_b32_e32 v12, 0
	s_or_b64 s[12:13], s[12:13], s[16:17]
; %bb.1485:
	s_or_b64 exec, exec, s[14:15]
	s_and_saveexec_b64 s[14:15], s[12:13]
	s_cbranch_execz .LBB9_1487
; %bb.1486:
	v_lshlrev_b32_e32 v11, 24, v9
	v_and_b32_e32 v9, 0xffff, v9
	v_and_b32_e32 v12, 7, v9
	v_ffbh_u32_e32 v15, v12
	v_min_u32_e32 v15, 32, v15
	v_subrev_u32_e32 v16, 28, v15
	v_bfe_u32 v13, v9, 3, 4
	v_lshlrev_b32_e32 v9, v16, v9
	v_sub_u32_e32 v15, 29, v15
	v_and_b32_e32 v9, 7, v9
	v_cmp_eq_u32_e32 vcc, 0, v13
	v_cndmask_b32_e32 v13, v13, v15, vcc
	v_cndmask_b32_e32 v9, v12, v9, vcc
	v_mov_b32_e32 v12, 0x3b800000
	v_lshlrev_b32_e32 v9, 20, v9
	v_and_b32_e32 v11, 0x80000000, v11
	v_lshl_add_u32 v12, v13, 23, v12
	v_or3_b32 v9, v11, v12, v9
	v_cvt_f64_f32_e32 v[11:12], v9
.LBB9_1487:
	s_or_b64 exec, exec, s[14:15]
.LBB9_1488:
	s_mov_b64 s[12:13], -1
.LBB9_1489:
	s_mov_b64 s[14:15], 0
.LBB9_1490:
	s_and_b64 vcc, exec, s[14:15]
	s_cbranch_vccz .LBB9_1521
; %bb.1491:
	s_cmp_gt_i32 s18, 22
	s_cbranch_scc0 .LBB9_1503
; %bb.1492:
	s_cmp_lt_i32 s18, 24
	s_cbranch_scc1 .LBB9_1504
; %bb.1493:
	s_cmp_gt_i32 s18, 24
	s_cbranch_scc0 .LBB9_1505
; %bb.1494:
	global_load_ubyte v9, v[7:8], off
	s_movk_i32 s4, 0x7f
	s_waitcnt vmcnt(0)
	v_cmp_lt_i16_e32 vcc, s4, v9
	s_mov_b64 s[4:5], 0
	s_and_saveexec_b64 s[12:13], vcc
	s_xor_b64 s[12:13], exec, s[12:13]
	s_cbranch_execz .LBB9_1498
; %bb.1495:
	s_movk_i32 s4, 0x80
	v_cmp_eq_u16_e32 vcc, s4, v9
	s_mov_b64 s[4:5], -1
	s_and_saveexec_b64 s[14:15], vcc
; %bb.1496:
	s_xor_b64 s[4:5], exec, -1
; %bb.1497:
	s_or_b64 exec, exec, s[14:15]
	s_and_b64 s[4:5], s[4:5], exec
.LBB9_1498:
	s_or_saveexec_b64 s[12:13], s[12:13]
	v_bfrev_b32_e32 v11, 4
	v_mov_b32_e32 v12, 0x7ff80000
	s_xor_b64 exec, exec, s[12:13]
; %bb.1499:
	v_cmp_ne_u16_e32 vcc, 0, v9
	v_mov_b32_e32 v11, 0
	s_andn2_b64 s[4:5], s[4:5], exec
	s_and_b64 s[14:15], vcc, exec
	v_mov_b32_e32 v12, 0
	s_or_b64 s[4:5], s[4:5], s[14:15]
; %bb.1500:
	s_or_b64 exec, exec, s[12:13]
	s_and_saveexec_b64 s[12:13], s[4:5]
	s_cbranch_execz .LBB9_1502
; %bb.1501:
	v_lshlrev_b32_e32 v11, 24, v9
	v_and_b32_e32 v9, 0xffff, v9
	v_and_b32_e32 v12, 3, v9
	v_ffbh_u32_e32 v15, v12
	v_min_u32_e32 v15, 32, v15
	v_subrev_u32_e32 v16, 29, v15
	v_bfe_u32 v13, v9, 2, 5
	v_lshlrev_b32_e32 v9, v16, v9
	v_sub_u32_e32 v15, 30, v15
	v_and_b32_e32 v9, 3, v9
	v_cmp_eq_u32_e32 vcc, 0, v13
	v_cndmask_b32_e32 v13, v13, v15, vcc
	v_cndmask_b32_e32 v9, v12, v9, vcc
	v_mov_b32_e32 v12, 0x37800000
	v_lshlrev_b32_e32 v9, 21, v9
	v_and_b32_e32 v11, 0x80000000, v11
	v_lshl_add_u32 v12, v13, 23, v12
	v_or3_b32 v9, v11, v12, v9
	v_cvt_f64_f32_e32 v[11:12], v9
.LBB9_1502:
	s_or_b64 exec, exec, s[12:13]
	s_mov_b64 s[4:5], 0
	s_branch .LBB9_1506
.LBB9_1503:
	s_mov_b64 s[4:5], -1
                                        ; implicit-def: $vgpr11_vgpr12
	s_branch .LBB9_1512
.LBB9_1504:
	s_mov_b64 s[4:5], -1
                                        ; implicit-def: $vgpr11_vgpr12
	s_branch .LBB9_1509
.LBB9_1505:
	s_mov_b64 s[4:5], -1
                                        ; implicit-def: $vgpr11_vgpr12
.LBB9_1506:
	s_and_b64 vcc, exec, s[4:5]
	s_cbranch_vccz .LBB9_1508
; %bb.1507:
	global_load_ubyte v9, v[7:8], off
	s_mov_b32 s4, 0x7f800000
	s_waitcnt vmcnt(0)
	v_lshlrev_b32_e32 v9, 24, v9
	v_and_b32_e32 v11, 0x7f000000, v9
	v_ffbh_u32_e32 v12, v11
	v_min_u32_e32 v12, 32, v12
	v_sub_u32_e64 v12, v12, 4 clamp
	v_lshlrev_b32_e32 v15, v12, v11
	v_lshlrev_b32_e32 v12, 23, v12
	v_lshrrev_b32_e32 v15, 4, v15
	v_add_u32_e32 v13, 0x1000000, v11
	v_sub_u32_e32 v12, v15, v12
	v_ashrrev_i32_e32 v13, 8, v13
	v_add_u32_e32 v12, 0x3c000000, v12
	v_and_or_b32 v12, v13, s4, v12
	v_cmp_ne_u32_e32 vcc, 0, v11
	v_cndmask_b32_e32 v11, 0, v12, vcc
	s_brev_b32 s4, 1
	v_and_or_b32 v9, v9, s4, v11
	v_cvt_f64_f32_e32 v[11:12], v9
.LBB9_1508:
	s_mov_b64 s[4:5], 0
.LBB9_1509:
	s_andn2_b64 vcc, exec, s[4:5]
	s_cbranch_vccnz .LBB9_1511
; %bb.1510:
	global_load_ubyte v9, v[7:8], off
	s_movk_i32 s4, 0x7f00
	s_brev_b32 s5, 16
	s_waitcnt vmcnt(0)
	v_lshlrev_b16_e32 v11, 8, v9
	v_lshlrev_b32_e32 v9, 25, v9
	v_lshrrev_b32_e32 v12, 4, v9
	v_and_or_b32 v13, v11, s4, 0.5
	v_or_b32_e32 v12, 0x70000000, v12
	v_add_f32_e32 v13, -0.5, v13
	v_mul_f32_e32 v12, 0x7800000, v12
	v_cmp_gt_u32_e32 vcc, s5, v9
	v_bfe_i32 v11, v11, 0, 16
	v_cndmask_b32_e32 v9, v12, v13, vcc
	s_brev_b32 s4, 1
	v_and_or_b32 v9, v11, s4, v9
	v_cvt_f64_f32_e32 v[11:12], v9
.LBB9_1511:
	s_mov_b64 s[4:5], 0
	s_mov_b64 s[12:13], -1
.LBB9_1512:
	s_andn2_b64 vcc, exec, s[4:5]
	s_mov_b64 s[4:5], 0
	s_cbranch_vccnz .LBB9_1521
; %bb.1513:
	s_cmp_gt_i32 s18, 14
	s_cbranch_scc0 .LBB9_1516
; %bb.1514:
	s_cmp_eq_u32 s18, 15
	s_cbranch_scc0 .LBB9_1517
; %bb.1515:
	global_load_ushort v9, v[7:8], off
	s_mov_b64 s[0:1], 0
	s_mov_b64 s[12:13], -1
	s_waitcnt vmcnt(0)
	v_lshlrev_b32_e32 v9, 16, v9
	v_cvt_f64_f32_e32 v[11:12], v9
	s_branch .LBB9_1518
.LBB9_1516:
	s_mov_b64 s[14:15], -1
                                        ; implicit-def: $vgpr11_vgpr12
	s_branch .LBB9_1519
.LBB9_1517:
	s_mov_b64 s[0:1], -1
                                        ; implicit-def: $vgpr11_vgpr12
.LBB9_1518:
	s_mov_b64 s[14:15], 0
.LBB9_1519:
	s_and_b64 vcc, exec, s[14:15]
	s_cbranch_vccz .LBB9_1521
; %bb.1520:
	s_cmp_lg_u32 s18, 11
	s_mov_b64 s[4:5], -1
	s_cselect_b64 s[0:1], -1, 0
.LBB9_1521:
	s_and_b64 vcc, exec, s[0:1]
	s_cbranch_vccnz .LBB9_1592
; %bb.1522:
	s_andn2_b64 vcc, exec, s[4:5]
	s_cbranch_vccnz .LBB9_1524
.LBB9_1523:
	global_load_ubyte v9, v[7:8], off
	v_mov_b32_e32 v12, 0x3ff00000
	v_mov_b32_e32 v11, 0
	s_mov_b64 s[12:13], -1
	s_waitcnt vmcnt(0)
	v_cmp_ne_u16_e32 vcc, 0, v9
	v_cndmask_b32_e32 v12, 0, v12, vcc
.LBB9_1524:
	s_branch .LBB9_1452
.LBB9_1525:
	s_and_b32 s4, 0xffff, s36
	s_cmp_lt_i32 s4, 5
	s_cbranch_scc1 .LBB9_1530
; %bb.1526:
	s_cmp_lt_i32 s4, 8
	s_cbranch_scc1 .LBB9_1531
; %bb.1527:
	;; [unrolled: 3-line block ×3, first 2 shown]
	s_cmp_gt_i32 s4, 9
	s_cbranch_scc0 .LBB9_1533
; %bb.1529:
	global_load_dwordx2 v[11:12], v[7:8], off
	s_mov_b64 s[0:1], 0
	s_branch .LBB9_1534
.LBB9_1530:
	s_mov_b64 s[0:1], -1
                                        ; implicit-def: $vgpr11_vgpr12
	s_branch .LBB9_1552
.LBB9_1531:
	s_mov_b64 s[0:1], -1
                                        ; implicit-def: $vgpr11_vgpr12
	s_branch .LBB9_1540
.LBB9_1532:
	s_mov_b64 s[0:1], -1
                                        ; implicit-def: $vgpr11_vgpr12
	s_branch .LBB9_1537
.LBB9_1533:
	s_mov_b64 s[0:1], -1
                                        ; implicit-def: $vgpr11_vgpr12
.LBB9_1534:
	s_andn2_b64 vcc, exec, s[0:1]
	s_cbranch_vccnz .LBB9_1536
; %bb.1535:
	global_load_dword v9, v[7:8], off
	s_waitcnt vmcnt(0)
	v_cvt_f64_f32_e32 v[11:12], v9
.LBB9_1536:
	s_mov_b64 s[0:1], 0
.LBB9_1537:
	s_andn2_b64 vcc, exec, s[0:1]
	s_cbranch_vccnz .LBB9_1539
; %bb.1538:
	global_load_dword v9, v[7:8], off
	s_waitcnt vmcnt(0)
	v_cvt_f32_f16_e32 v9, v9
	v_cvt_f64_f32_e32 v[11:12], v9
.LBB9_1539:
	s_mov_b64 s[0:1], 0
.LBB9_1540:
	s_andn2_b64 vcc, exec, s[0:1]
	s_cbranch_vccnz .LBB9_1551
; %bb.1541:
	s_cmp_lt_i32 s4, 6
	s_cbranch_scc1 .LBB9_1544
; %bb.1542:
	s_cmp_gt_i32 s4, 6
	s_cbranch_scc0 .LBB9_1545
; %bb.1543:
	global_load_dwordx2 v[11:12], v[7:8], off
	s_mov_b64 s[0:1], 0
	s_branch .LBB9_1546
.LBB9_1544:
	s_mov_b64 s[0:1], -1
                                        ; implicit-def: $vgpr11_vgpr12
	s_branch .LBB9_1549
.LBB9_1545:
	s_mov_b64 s[0:1], -1
                                        ; implicit-def: $vgpr11_vgpr12
.LBB9_1546:
	s_andn2_b64 vcc, exec, s[0:1]
	s_cbranch_vccnz .LBB9_1548
; %bb.1547:
	global_load_dword v9, v[7:8], off
	s_waitcnt vmcnt(0)
	v_cvt_f64_f32_e32 v[11:12], v9
.LBB9_1548:
	s_mov_b64 s[0:1], 0
.LBB9_1549:
	s_andn2_b64 vcc, exec, s[0:1]
	s_cbranch_vccnz .LBB9_1551
; %bb.1550:
	global_load_ushort v9, v[7:8], off
	s_waitcnt vmcnt(0)
	v_cvt_f32_f16_e32 v9, v9
	v_cvt_f64_f32_e32 v[11:12], v9
.LBB9_1551:
	s_mov_b64 s[0:1], 0
.LBB9_1552:
	s_andn2_b64 vcc, exec, s[0:1]
	s_cbranch_vccnz .LBB9_1572
; %bb.1553:
	s_cmp_lt_i32 s4, 2
	s_cbranch_scc1 .LBB9_1557
; %bb.1554:
	s_cmp_lt_i32 s4, 3
	s_cbranch_scc1 .LBB9_1558
; %bb.1555:
	s_cmp_gt_i32 s4, 3
	s_cbranch_scc0 .LBB9_1559
; %bb.1556:
	global_load_dwordx2 v[11:12], v[7:8], off
	s_mov_b64 s[0:1], 0
	s_waitcnt vmcnt(0)
	v_cvt_f64_i32_e32 v[12:13], v12
	v_cvt_f64_u32_e32 v[15:16], v11
	v_ldexp_f64 v[12:13], v[12:13], 32
	v_add_f64 v[11:12], v[12:13], v[15:16]
	s_branch .LBB9_1560
.LBB9_1557:
	s_mov_b64 s[0:1], -1
                                        ; implicit-def: $vgpr11_vgpr12
	s_branch .LBB9_1566
.LBB9_1558:
	s_mov_b64 s[0:1], -1
                                        ; implicit-def: $vgpr11_vgpr12
	s_branch .LBB9_1563
.LBB9_1559:
	s_mov_b64 s[0:1], -1
                                        ; implicit-def: $vgpr11_vgpr12
.LBB9_1560:
	s_andn2_b64 vcc, exec, s[0:1]
	s_cbranch_vccnz .LBB9_1562
; %bb.1561:
	global_load_dword v9, v[7:8], off
	s_waitcnt vmcnt(0)
	v_cvt_f64_i32_e32 v[11:12], v9
.LBB9_1562:
	s_mov_b64 s[0:1], 0
.LBB9_1563:
	s_andn2_b64 vcc, exec, s[0:1]
	s_cbranch_vccnz .LBB9_1565
; %bb.1564:
	global_load_sshort v9, v[7:8], off
	s_waitcnt vmcnt(0)
	v_cvt_f64_i32_e32 v[11:12], v9
.LBB9_1565:
	s_mov_b64 s[0:1], 0
.LBB9_1566:
	s_andn2_b64 vcc, exec, s[0:1]
	s_cbranch_vccnz .LBB9_1572
; %bb.1567:
	s_cmp_gt_i32 s4, 0
	s_cbranch_scc0 .LBB9_1569
; %bb.1568:
	global_load_sbyte v9, v[7:8], off
	s_mov_b64 s[0:1], 0
	s_waitcnt vmcnt(0)
	v_cvt_f64_i32_e32 v[11:12], v9
	s_branch .LBB9_1570
.LBB9_1569:
	s_mov_b64 s[0:1], -1
                                        ; implicit-def: $vgpr11_vgpr12
.LBB9_1570:
	s_andn2_b64 vcc, exec, s[0:1]
	s_cbranch_vccnz .LBB9_1572
; %bb.1571:
	global_load_ubyte v7, v[7:8], off
	s_waitcnt vmcnt(0)
	v_cvt_f64_u32_e32 v[11:12], v7
.LBB9_1572:
.LBB9_1573:
	s_waitcnt vmcnt(0)
	v_cmp_neq_f64_e32 vcc, 0, v[11:12]
	v_mov_b32_e32 v8, 0
	v_mov_b32_e32 v9, 0x7ff00000
	s_and_saveexec_b64 s[4:5], vcc
	s_cbranch_execz .LBB9_1581
; %bb.1574:
	v_cmp_ngt_f64_e32 vcc, 0, v[11:12]
	v_mov_b32_e32 v8, 0
	v_mov_b32_e32 v9, 0x7ff80000
	s_and_saveexec_b64 s[12:13], vcc
	s_cbranch_execz .LBB9_1580
; %bb.1575:
	v_cmp_ge_f64_e32 vcc, 2.0, v[11:12]
                                        ; implicit-def: $vgpr8_vgpr9
	s_and_saveexec_b64 s[0:1], vcc
	s_xor_b64 s[14:15], exec, s[0:1]
	s_cbranch_execz .LBB9_1577
; %bb.1576:
	v_fma_f64 v[7:8], v[11:12], 0.5, -2.0
	v_mov_b32_e32 v15, 0x977da589
	v_mov_b32_e32 v16, 0x3c833362
	s_mov_b32 s1, 0xbc545cb7
	s_mov_b32 s0, 0x2134d0ef
	;; [unrolled: 1-line block ×5, first 2 shown]
	v_fma_f64 v[15:16], v[7:8], s[0:1], v[15:16]
	s_mov_b32 s1, 0x3c545cb7
	s_mov_b32 s39, 0x3fd99999
	;; [unrolled: 1-line block ×7, first 2 shown]
	v_fma_f64 v[17:18], v[7:8], v[15:16], s[0:1]
	s_mov_b32 s0, 0x721ebbb4
	s_mov_b32 s1, 0xbcb184eb
	;; [unrolled: 1-line block ×7, first 2 shown]
	v_add_f64 v[17:18], v[17:18], s[0:1]
	s_mov_b32 s0, 0x93f65eba
	s_mov_b32 s1, 0x3cdee6d8
	;; [unrolled: 1-line block ×7, first 2 shown]
	v_fma_f64 v[15:16], v[7:8], v[17:18], -v[15:16]
	s_mov_b32 s21, 0x3f54b82e
	s_mov_b32 s18, 0x554a9085
	;; [unrolled: 1-line block ×3, first 2 shown]
	v_mov_b32_e32 v13, 0xfff00000
	v_add_f64 v[15:16], v[15:16], s[0:1]
	s_mov_b32 s0, 0xc297fbeb
	s_mov_b32 s1, 0xbd0a5022
	v_fma_f64 v[17:18], v[7:8], v[15:16], -v[17:18]
	v_add_f64 v[17:18], v[17:18], s[0:1]
	s_mov_b32 s0, 0x4b262627
	s_mov_b32 s1, 0x3d359b46
	v_fma_f64 v[15:16], v[7:8], v[17:18], -v[15:16]
	;; [unrolled: 4-line block ×4, first 2 shown]
	v_add_f64 v[19:20], v[15:16], s[0:1]
	v_mul_f64 v[15:16], v[11:12], 0.5
	s_mov_b32 s0, 0x7a946abc
	s_mov_b32 s1, 0xbdb2fc95
	v_fma_f64 v[17:18], v[7:8], v[19:20], -v[17:18]
	v_frexp_mant_f64_e32 v[21:22], v[15:16]
	v_add_f64 v[17:18], v[17:18], s[0:1]
	v_cmp_gt_f64_e32 vcc, s[16:17], v[21:22]
	s_mov_b32 s0, 0xcc743c10
	s_mov_b32 s1, 0x3dda98be
	;; [unrolled: 1-line block ×3, first 2 shown]
	v_fma_f64 v[19:20], v[7:8], v[17:18], -v[19:20]
	v_cndmask_b32_e64 v9, 0, 1, vcc
	v_ldexp_f64 v[21:22], v[21:22], v9
	v_frexp_exp_i32_f64_e32 v9, v[15:16]
	v_add_f64 v[19:20], v[19:20], s[0:1]
	s_mov_b32 s0, 0x13ae9556
	v_add_f64 v[23:24], v[21:22], 1.0
	s_mov_b32 s1, 0xbe01d4fe
	v_add_f64 v[29:30], v[21:22], -1.0
	v_subbrev_co_u32_e32 v9, vcc, 0, v9, vcc
	v_cvt_f64_i32_e32 v[41:42], v9
	v_fma_f64 v[17:18], v[7:8], v[19:20], -v[17:18]
	v_rcp_f64_e32 v[25:26], v[23:24]
	v_add_f64 v[31:32], v[23:24], -1.0
	v_mul_f64 v[43:44], v[41:42], s[40:41]
	v_add_f64 v[17:18], v[17:18], s[0:1]
	s_mov_b32 s0, 0xa454cb34
	s_mov_b32 s1, 0x3e26d903
	v_add_f64 v[21:22], v[21:22], -v[31:32]
	v_fma_f64 v[19:20], v[7:8], v[17:18], -v[19:20]
	v_fma_f64 v[27:28], -v[23:24], v[25:26], 1.0
	v_fma_f64 v[25:26], v[27:28], v[25:26], v[25:26]
	v_add_f64 v[27:28], v[19:20], s[0:1]
	s_mov_b32 s0, 0x8c0b30ab
	s_mov_b32 s1, 0xbe4beaf6
	v_fma_f64 v[19:20], -v[23:24], v[25:26], 1.0
	v_fma_f64 v[17:18], v[7:8], v[27:28], -v[17:18]
	v_fma_f64 v[25:26], v[19:20], v[25:26], v[25:26]
	v_add_f64 v[17:18], v[17:18], s[0:1]
	s_mov_b32 s0, 0x9d4d6435
	s_mov_b32 s1, 0x3e703b76
	v_mul_f64 v[19:20], v[29:30], v[25:26]
	v_fma_f64 v[27:28], v[7:8], v[17:18], -v[27:28]
	v_mul_f64 v[33:34], v[23:24], v[19:20]
	v_add_f64 v[27:28], v[27:28], s[0:1]
	s_mov_b32 s0, 0x8f227f8d
	s_mov_b32 s1, 0xbe91ec63
	v_fma_f64 v[23:24], v[19:20], v[23:24], -v[33:34]
	v_fma_f64 v[17:18], v[7:8], v[27:28], -v[17:18]
	v_fma_f64 v[21:22], v[19:20], v[21:22], v[23:24]
	v_add_f64 v[17:18], v[17:18], s[0:1]
	s_mov_b32 s0, 0x978cf4ac
	s_mov_b32 s1, 0x3eb2bf24
	v_add_f64 v[23:24], v[33:34], v[21:22]
	v_fma_f64 v[27:28], v[7:8], v[17:18], -v[27:28]
	v_add_f64 v[31:32], v[29:30], -v[23:24]
	v_add_f64 v[27:28], v[27:28], s[0:1]
	v_add_f64 v[33:34], v[23:24], -v[33:34]
	s_mov_b32 s0, 0xcba56427
	s_mov_b32 s1, 0xbed2866f
	v_add_f64 v[29:30], v[29:30], -v[31:32]
	v_fma_f64 v[17:18], v[7:8], v[27:28], -v[17:18]
	v_add_f64 v[21:22], v[33:34], -v[21:22]
	v_mov_b32_e32 v33, 0x6b47b09a
	v_mov_b32_e32 v34, 0x3fc38538
	v_add_f64 v[23:24], v[29:30], -v[23:24]
	v_add_f64 v[17:18], v[17:18], s[0:1]
	s_mov_b32 s0, 0xbe9a2859
	s_mov_b32 s1, 0x3ef13f58
	v_add_f64 v[21:22], v[21:22], v[23:24]
	v_fma_f64 v[23:24], v[7:8], v[17:18], -v[27:28]
	v_mov_b32_e32 v27, 0xc384c2aa
	v_mov_b32_e32 v28, 0x3d27fb0a
	v_add_f64 v[21:22], v[31:32], v[21:22]
	v_add_f64 v[23:24], v[23:24], s[0:1]
	s_mov_b32 s0, 0x59c41d5a
	s_mov_b32 s1, 0xbf0e2b26
	v_mul_f64 v[21:22], v[25:26], v[21:22]
	v_fma_f64 v[25:26], v[7:8], v[23:24], -v[17:18]
	v_fma_f64 v[17:18], v[11:12], v[11:12], -2.0
	v_add_f64 v[29:30], v[19:20], v[21:22]
	v_add_f64 v[25:26], v[25:26], s[0:1]
	s_mov_b32 s0, 0xbf559e2b
	s_mov_b32 s1, 0x3fc3ab76
	v_fma_f64 v[27:28], v[17:18], s[30:31], v[27:28]
	s_mov_b32 s31, 0xbca3cee1
	v_mul_f64 v[31:32], v[29:30], v[29:30]
	v_fma_f64 v[23:24], v[7:8], v[25:26], -v[23:24]
	v_ldexp_f64 v[37:38], v[29:30], 1
	v_add_f64 v[19:20], v[29:30], -v[19:20]
	v_fma_f64 v[39:40], v[17:18], v[27:28], s[30:31]
	s_mov_b32 s30, 0xf121b6f0
	s_mov_b32 s31, 0xbf984e9e
	v_fma_f64 v[33:34], v[31:32], s[0:1], v[33:34]
	s_mov_b32 s0, 0x74107cab
	s_mov_b32 s1, 0x3f28b51b
	v_add_f64 v[23:24], v[23:24], s[0:1]
	s_mov_b32 s0, 0xd7f4df2e
	s_mov_b32 s1, 0x3fc7474d
	v_mul_f64 v[35:36], v[29:30], v[31:32]
	v_add_f64 v[39:40], v[39:40], s[34:35]
	v_fma_f64 v[33:34], v[31:32], v[33:34], s[0:1]
	s_mov_b32 s0, 0x16291751
	s_mov_b32 s1, 0x3fcc71c0
	v_fma_f64 v[25:26], v[7:8], v[23:24], -v[25:26]
	v_add_f64 v[21:22], v[21:22], -v[19:20]
	v_fma_f64 v[27:28], v[17:18], v[39:40], -v[27:28]
	v_fma_f64 v[33:34], v[31:32], v[33:34], s[0:1]
	s_mov_b32 s0, 0x1f15eb52
	s_mov_b32 s1, 0xbf42e2fd
	v_add_f64 v[25:26], v[25:26], s[0:1]
	s_mov_b32 s0, 0x9b27acf1
	s_mov_b32 s1, 0x3fd24924
	v_ldexp_f64 v[21:22], v[21:22], 1
	v_add_f64 v[27:28], v[27:28], s[26:27]
	v_fma_f64 v[33:34], v[31:32], v[33:34], s[0:1]
	s_mov_b32 s26, 0x623fde64
	s_mov_b32 s27, 0x3ec71dee
	v_fma_f64 v[23:24], v[7:8], v[25:26], -v[23:24]
	s_mov_b32 s0, 0x81213db9
	s_mov_b32 s1, 0x3fd608d8
	v_fma_f64 v[39:40], v[17:18], v[27:28], -v[39:40]
	v_fma_f64 v[33:34], v[31:32], v[33:34], s[38:39]
	s_mov_b32 s38, 0x8a12100e
	s_mov_b32 s39, 0x3f5adc75
	v_add_f64 v[23:24], v[23:24], s[38:39]
	s_mov_b32 s38, 0x652b82fe
	s_mov_b32 s39, 0x3ff71547
	v_add_f64 v[39:40], v[39:40], s[24:25]
	v_fma_f64 v[31:32], v[31:32], v[33:34], s[16:17]
	s_mov_b32 s16, 0x201aa849
	s_mov_b32 s17, 0xbf71b65e
	v_fma_f64 v[25:26], v[7:8], v[23:24], -v[25:26]
	v_mov_b32_e32 v33, 0xfca7ab0c
	v_mov_b32_e32 v34, 0x3e928af3
	s_mov_b32 s24, 0x14761f6e
	v_fma_f64 v[27:28], v[17:18], v[39:40], -v[27:28]
	v_mul_f64 v[31:32], v[35:36], v[31:32]
	v_mul_f64 v[35:36], v[11:12], s[38:39]
	s_mov_b32 s25, 0x3f2a01a0
	v_add_f64 v[25:26], v[25:26], s[16:17]
	s_mov_b32 s16, 0xf3dde3dd
	s_mov_b32 s17, 0x3f859961
	v_add_f64 v[27:28], v[27:28], s[22:23]
	v_add_f64 v[29:30], v[37:38], v[31:32]
	v_rndne_f64_e32 v[19:20], v[35:36]
	v_fma_f64 v[35:36], v[41:42], s[40:41], -v[43:44]
	v_fma_f64 v[23:24], v[7:8], v[25:26], -v[23:24]
	s_mov_b32 s41, 0xbfe62e42
	s_mov_b32 s22, 0x77ac88c0
	s_mov_b32 s23, 0x3fc5f7ac
	v_add_f64 v[37:38], v[29:30], -v[37:38]
	v_fma_f64 v[11:12], v[19:20], s[40:41], v[11:12]
	v_fma_f64 v[35:36], v[41:42], s[42:43], v[35:36]
	v_add_f64 v[23:24], v[23:24], s[16:17]
	s_mov_b32 s43, 0xbc7abc9e
	s_mov_b32 s16, 0x6a5dcb37
	;; [unrolled: 1-line block ×3, first 2 shown]
	v_cvt_i32_f64_e32 v9, v[19:20]
	v_add_f64 v[31:32], v[31:32], -v[37:38]
	v_fma_f64 v[11:12], v[19:20], s[42:43], v[11:12]
	v_fma_f64 v[25:26], v[7:8], v[23:24], -v[25:26]
	v_add_f64 v[21:22], v[21:22], v[31:32]
	v_add_f64 v[31:32], v[43:44], v[35:36]
	v_fma_f64 v[33:34], v[11:12], s[16:17], v[33:34]
	v_add_f64 v[25:26], v[25:26], s[30:31]
	s_mov_b32 s30, 0xcea8a32d
	s_mov_b32 s31, 0x3fa93e8a
	;; [unrolled: 1-line block ×4, first 2 shown]
	v_add_f64 v[37:38], v[29:30], v[21:22]
	v_add_f64 v[43:44], v[31:32], -v[43:44]
	v_fma_f64 v[33:34], v[11:12], v[33:34], s[26:27]
	v_fma_f64 v[23:24], v[7:8], v[25:26], -v[23:24]
	s_mov_b32 s26, 0x1852b7b0
	s_mov_b32 s27, 0x3f56c16c
	v_add_f64 v[41:42], v[31:32], v[37:38]
	v_add_f64 v[29:30], v[37:38], -v[29:30]
	v_fma_f64 v[33:34], v[11:12], v[33:34], s[16:17]
	v_add_f64 v[23:24], v[23:24], s[30:31]
	s_mov_b32 s30, 0x342d06ea
	s_mov_b32 s31, 0xbfb84b70
	v_add_f64 v[35:36], v[35:36], -v[43:44]
	s_mov_b32 s16, 0x11122322
	v_add_f64 v[45:46], v[41:42], -v[31:32]
	v_add_f64 v[21:22], v[21:22], -v[29:30]
	v_fma_f64 v[33:34], v[11:12], v[33:34], s[24:25]
	v_fma_f64 v[25:26], v[7:8], v[23:24], -v[25:26]
	s_mov_b32 s17, 0x3f811111
	v_add_f64 v[47:48], v[41:42], -v[45:46]
	v_add_f64 v[29:30], v[37:38], -v[45:46]
	v_fma_f64 v[37:38], v[17:18], v[27:28], -v[39:40]
	v_add_f64 v[25:26], v[25:26], s[30:31]
	v_fma_f64 v[33:34], v[11:12], v[33:34], s[26:27]
	v_add_f64 v[39:40], v[35:36], v[21:22]
	v_add_f64 v[31:32], v[31:32], -v[47:48]
	v_fma_f64 v[23:24], v[7:8], v[25:26], -v[23:24]
	v_fma_f64 v[33:34], v[11:12], v[33:34], s[16:17]
	s_mov_b32 s16, 0x555502a1
	s_mov_b32 s17, 0x3fa55555
	v_add_f64 v[29:30], v[29:30], v[31:32]
	v_add_f64 v[31:32], v[37:38], s[20:21]
	s_mov_b32 s20, 0x55555511
	v_add_f64 v[23:24], v[23:24], s[22:23]
	v_fma_f64 v[33:34], v[11:12], v[33:34], s[16:17]
	v_add_f64 v[37:38], v[39:40], -v[35:36]
	s_mov_b32 s16, 0xc057cd8d
	s_mov_b32 s21, 0x3fc55555
	v_add_f64 v[29:30], v[39:40], v[29:30]
	v_fma_f64 v[27:28], v[17:18], v[31:32], -v[27:28]
	s_mov_b32 s17, 0xbfd37feb
	v_fma_f64 v[25:26], v[7:8], v[23:24], -v[25:26]
	v_fma_f64 v[33:34], v[11:12], v[33:34], s[20:21]
	v_add_f64 v[39:40], v[39:40], -v[37:38]
	v_add_f64 v[21:22], v[21:22], -v[37:38]
	v_add_f64 v[43:44], v[41:42], v[29:30]
	v_add_f64 v[27:28], v[27:28], s[18:19]
	;; [unrolled: 1-line block ×3, first 2 shown]
	s_mov_b32 s16, 11
	s_mov_b32 s17, 0x3fe00000
	v_fma_f64 v[33:34], v[11:12], v[33:34], s[16:17]
	v_add_f64 v[35:36], v[35:36], -v[39:40]
	v_add_f64 v[37:38], v[43:44], -v[41:42]
	v_fma_f64 v[31:32], v[17:18], v[27:28], -v[31:32]
	s_mov_b32 s16, 0x9035a22a
	v_fma_f64 v[7:8], v[7:8], v[25:26], -v[23:24]
	s_mov_b32 s17, 0x3fe5a84e
	v_add_f64 v[21:22], v[21:22], v[35:36]
	v_add_f64 v[25:26], v[29:30], -v[37:38]
	v_add_f64 v[29:30], v[31:32], s[0:1]
	v_fma_f64 v[31:32], v[11:12], v[33:34], 1.0
	v_add_f64 v[7:8], v[7:8], s[16:17]
	s_mov_b32 s0, 0xe9d2f61f
	s_mov_b32 s1, 0xbfe12166
	v_add_f64 v[21:22], v[21:22], v[25:26]
	v_fma_f64 v[17:18], v[17:18], v[29:30], -v[27:28]
	v_fma_f64 v[11:12], v[11:12], v[31:32], 1.0
	v_add_f64 v[7:8], v[7:8], -v[23:24]
	v_add_f64 v[19:20], v[43:44], v[21:22]
	v_add_f64 v[17:18], v[17:18], s[0:1]
	v_ldexp_f64 v[11:12], v[11:12], v9
	v_mul_f64 v[7:8], v[7:8], 0.5
	s_mov_b32 s0, 0
	s_mov_b32 s1, 0x7ff00000
	v_cmp_neq_f64_e32 vcc, s[0:1], v[15:16]
	v_cmp_neq_f64_e64 s[0:1], 0, v[15:16]
	v_mov_b32_e32 v9, 0x7ff00000
	v_add_f64 v[15:16], v[17:18], -v[27:28]
	v_mul_f64 v[7:8], v[11:12], v[7:8]
	v_cndmask_b32_e32 v9, v9, v20, vcc
	s_and_b64 vcc, s[0:1], vcc
	v_cndmask_b32_e64 v18, v13, v9, s[0:1]
	v_cndmask_b32_e32 v17, 0, v19, vcc
	v_mul_f64 v[7:8], v[17:18], v[7:8]
	v_fma_f64 v[7:8], v[15:16], 0.5, -v[7:8]
	v_mul_f64 v[8:9], v[11:12], v[7:8]
                                        ; implicit-def: $vgpr11_vgpr12
.LBB9_1577:
	s_andn2_saveexec_b64 s[0:1], s[14:15]
	s_cbranch_execz .LBB9_1579
; %bb.1578:
	s_mov_b32 s14, 0
	s_mov_b32 s15, 0x40200000
	v_div_scale_f64 v[7:8], s[16:17], v[11:12], v[11:12], s[14:15]
	v_mov_b32_e32 v9, 0x100
	v_mov_b32_e32 v13, 0x260
	v_rcp_f64_e32 v[15:16], v[7:8]
	v_fma_f64 v[17:18], -v[7:8], v[15:16], 1.0
	v_fma_f64 v[15:16], v[15:16], v[17:18], v[15:16]
	v_div_scale_f64 v[17:18], vcc, s[14:15], v[11:12], s[14:15]
	v_fma_f64 v[19:20], -v[7:8], v[15:16], 1.0
	v_fma_f64 v[15:16], v[15:16], v[19:20], v[15:16]
	v_mul_f64 v[19:20], v[17:18], v[15:16]
	v_fma_f64 v[7:8], -v[7:8], v[19:20], v[17:18]
	v_div_fmas_f64 v[7:8], v[7:8], v[15:16], v[19:20]
	v_mov_b32_e32 v15, 0x93812603
	v_mov_b32_e32 v16, 0xbc72fecc
	v_div_fixup_f64 v[7:8], v[7:8], v[11:12], s[14:15]
	s_mov_b32 s15, 0x3c5871a5
	s_mov_b32 s14, 0xcf8c9ee1
	v_add_f64 v[7:8], v[7:8], -2.0
	v_fma_f64 v[15:16], v[7:8], s[14:15], v[15:16]
	s_mov_b32 s15, 0xbc5871a5
	v_fma_f64 v[17:18], v[7:8], v[15:16], s[14:15]
	s_mov_b32 s14, 0x41a8cdf4
	s_mov_b32 s15, 0x3c8e092e
	v_add_f64 v[17:18], v[17:18], s[14:15]
	s_mov_b32 s14, 0x74d77641
	s_mov_b32 s15, 0xbca82f94
	v_fma_f64 v[15:16], v[7:8], v[17:18], -v[15:16]
	v_add_f64 v[15:16], v[15:16], s[14:15]
	s_mov_b32 s14, 0x6b94785b
	s_mov_b32 s15, 0x3cc3dbf9
	v_fma_f64 v[17:18], v[7:8], v[15:16], -v[17:18]
	;; [unrolled: 4-line block ×17, first 2 shown]
	v_add_f64 v[15:16], v[15:16], s[14:15]
	s_mov_b32 s14, 0
	s_brev_b32 s15, 8
	v_cmp_gt_f64_e32 vcc, s[14:15], v[11:12]
	s_mov_b32 s14, 0xcc7470a9
	s_mov_b32 s15, 0x3eed413f
	v_fma_f64 v[17:18], v[7:8], v[15:16], -v[17:18]
	v_cndmask_b32_e32 v9, 0, v9, vcc
	v_ldexp_f64 v[11:12], v[11:12], v9
	v_mov_b32_e32 v9, 0xffffff80
	v_cndmask_b32_e32 v9, 0, v9, vcc
	v_add_f64 v[17:18], v[17:18], s[14:15]
	s_mov_b32 s14, 0xe7889f42
	s_mov_b32 s15, 0xbf20d797
	v_rsq_f64_e32 v[19:20], v[11:12]
	v_cmp_class_f64_e32 vcc, v[11:12], v13
	v_fma_f64 v[15:16], v[7:8], v[17:18], -v[15:16]
	v_add_f64 v[15:16], v[15:16], s[14:15]
	s_mov_b32 s14, 0xfca79342
	s_mov_b32 s15, 0x3f59b891
	v_mul_f64 v[21:22], v[11:12], v[19:20]
	v_mul_f64 v[19:20], v[19:20], 0.5
	v_fma_f64 v[17:18], v[7:8], v[15:16], -v[17:18]
	v_fma_f64 v[23:24], -v[19:20], v[21:22], 0.5
	v_add_f64 v[17:18], v[17:18], s[14:15]
	s_mov_b32 s14, 0x2d4ff71e
	s_mov_b32 s15, 0xbfa019f7
	v_fma_f64 v[21:22], v[21:22], v[23:24], v[21:22]
	v_fma_f64 v[19:20], v[19:20], v[23:24], v[19:20]
	v_fma_f64 v[15:16], v[7:8], v[17:18], -v[15:16]
	v_fma_f64 v[23:24], -v[21:22], v[21:22], v[11:12]
	v_add_f64 v[15:16], v[15:16], s[14:15]
	s_mov_b32 s14, 0x9f4e6907
	s_mov_b32 s15, 0x400385bd
	v_fma_f64 v[21:22], v[23:24], v[19:20], v[21:22]
	v_fma_f64 v[7:8], v[7:8], v[15:16], -v[17:18]
	v_fma_f64 v[15:16], -v[21:22], v[21:22], v[11:12]
	v_add_f64 v[7:8], v[7:8], s[14:15]
	v_fma_f64 v[15:16], v[15:16], v[19:20], v[21:22]
	v_add_f64 v[7:8], v[7:8], -v[17:18]
	v_ldexp_f64 v[15:16], v[15:16], v9
	v_mul_f64 v[7:8], v[7:8], 0.5
	v_cndmask_b32_e32 v12, v16, v12, vcc
	v_cndmask_b32_e32 v11, v15, v11, vcc
	v_div_scale_f64 v[15:16], s[14:15], v[11:12], v[11:12], v[7:8]
	v_div_scale_f64 v[21:22], vcc, v[7:8], v[11:12], v[7:8]
	v_rcp_f64_e32 v[17:18], v[15:16]
	v_fma_f64 v[19:20], -v[15:16], v[17:18], 1.0
	v_fma_f64 v[17:18], v[17:18], v[19:20], v[17:18]
	v_fma_f64 v[19:20], -v[15:16], v[17:18], 1.0
	v_fma_f64 v[17:18], v[17:18], v[19:20], v[17:18]
	v_mul_f64 v[19:20], v[21:22], v[17:18]
	v_fma_f64 v[15:16], -v[15:16], v[19:20], v[21:22]
	v_div_fmas_f64 v[15:16], v[15:16], v[17:18], v[19:20]
	v_div_fixup_f64 v[8:9], v[15:16], v[11:12], v[7:8]
.LBB9_1579:
	s_or_b64 exec, exec, s[0:1]
.LBB9_1580:
	s_or_b64 exec, exec, s[12:13]
.LBB9_1581:
	s_or_b64 exec, exec, s[4:5]
	v_mov_b32_e32 v7, s11
	v_add_co_u32_e32 v11, vcc, s10, v3
	s_cmp_lt_i32 s36, 11
	v_addc_co_u32_e32 v12, vcc, 0, v7, vcc
	s_cbranch_scc1 .LBB9_1588
; %bb.1582:
	s_and_b32 s16, 0xffff, s36
	s_cmp_gt_i32 s16, 25
	s_mov_b64 s[4:5], 0
	s_cbranch_scc0 .LBB9_1589
; %bb.1583:
	s_cmp_gt_i32 s16, 28
	s_cbranch_scc0 .LBB9_1590
; %bb.1584:
	s_cmp_gt_i32 s16, 43
	;; [unrolled: 3-line block ×3, first 2 shown]
	s_cbranch_scc0 .LBB9_1593
; %bb.1586:
	s_cmp_eq_u32 s16, 46
	s_mov_b64 s[12:13], 0
	s_cbranch_scc0 .LBB9_1594
; %bb.1587:
	global_load_dword v3, v[11:12], off
	s_mov_b64 s[0:1], 0
	s_mov_b64 s[10:11], -1
	s_waitcnt vmcnt(0)
	v_lshlrev_b32_e32 v3, 16, v3
	v_cvt_f64_f32_e32 v[15:16], v3
	s_branch .LBB9_1595
.LBB9_1588:
	s_mov_b64 s[0:1], -1
	s_mov_b64 s[10:11], 0
                                        ; implicit-def: $vgpr15_vgpr16
	s_branch .LBB9_1661
.LBB9_1589:
	s_mov_b64 s[12:13], -1
	s_mov_b64 s[10:11], 0
	s_mov_b64 s[0:1], 0
                                        ; implicit-def: $vgpr15_vgpr16
	s_branch .LBB9_1626
.LBB9_1590:
	s_mov_b64 s[12:13], -1
	s_mov_b64 s[10:11], 0
	s_mov_b64 s[0:1], 0
                                        ; implicit-def: $vgpr15_vgpr16
	s_branch .LBB9_1605
.LBB9_1591:
	s_mov_b64 s[12:13], -1
	s_mov_b64 s[10:11], 0
	s_mov_b64 s[0:1], 0
                                        ; implicit-def: $vgpr15_vgpr16
	s_branch .LBB9_1600
.LBB9_1592:
	s_trap 2
	s_or_b64 s[2:3], s[2:3], exec
	s_cbranch_execz .LBB9_1523
	s_branch .LBB9_1524
.LBB9_1593:
	s_mov_b64 s[12:13], -1
	s_mov_b64 s[10:11], 0
	s_mov_b64 s[0:1], 0
                                        ; implicit-def: $vgpr15_vgpr16
	s_branch .LBB9_1595
.LBB9_1594:
	s_mov_b64 s[0:1], -1
                                        ; implicit-def: $vgpr15_vgpr16
	s_mov_b64 s[10:11], 0
.LBB9_1595:
	s_and_b64 vcc, exec, s[12:13]
	s_cbranch_vccz .LBB9_1599
; %bb.1596:
	s_cmp_eq_u32 s16, 44
	s_cbranch_scc0 .LBB9_1598
; %bb.1597:
	global_load_ubyte v3, v[11:12], off
	s_movk_i32 s10, 0xff
	v_bfrev_b32_e32 v7, 4
	v_mov_b32_e32 v13, 0x7ff80000
	v_bfrev_b32_e32 v17, 28
	s_mov_b64 s[0:1], 0
	s_waitcnt vmcnt(0)
	v_lshlrev_b32_e32 v15, 23, v3
	v_cvt_f64_f32_e32 v[15:16], v15
	v_cmp_ne_u32_e32 vcc, s10, v3
	s_mov_b64 s[10:11], -1
	v_cndmask_b32_e32 v7, v7, v15, vcc
	v_cndmask_b32_e32 v13, v13, v16, vcc
	v_cmp_ne_u32_e32 vcc, 0, v3
	v_cndmask_b32_e32 v16, v17, v13, vcc
	v_cndmask_b32_e32 v15, 0, v7, vcc
	s_branch .LBB9_1599
.LBB9_1598:
	s_mov_b64 s[0:1], -1
                                        ; implicit-def: $vgpr15_vgpr16
.LBB9_1599:
	s_mov_b64 s[12:13], 0
.LBB9_1600:
	s_and_b64 vcc, exec, s[12:13]
	s_cbranch_vccz .LBB9_1604
; %bb.1601:
	s_cmp_eq_u32 s16, 29
	s_cbranch_scc0 .LBB9_1603
; %bb.1602:
	global_load_dwordx2 v[15:16], v[11:12], off
	s_mov_b64 s[0:1], 0
	s_mov_b64 s[10:11], -1
	s_mov_b64 s[12:13], 0
	s_waitcnt vmcnt(0)
	v_cvt_f64_u32_e32 v[16:17], v16
	v_cvt_f64_u32_e32 v[18:19], v15
	v_ldexp_f64 v[16:17], v[16:17], 32
	v_add_f64 v[15:16], v[16:17], v[18:19]
	s_branch .LBB9_1605
.LBB9_1603:
	s_mov_b64 s[0:1], -1
                                        ; implicit-def: $vgpr15_vgpr16
.LBB9_1604:
	s_mov_b64 s[12:13], 0
.LBB9_1605:
	s_and_b64 vcc, exec, s[12:13]
	s_cbranch_vccz .LBB9_1625
; %bb.1606:
	s_cmp_lt_i32 s16, 27
	s_cbranch_scc1 .LBB9_1609
; %bb.1607:
	s_cmp_gt_i32 s16, 27
	s_cbranch_scc0 .LBB9_1610
; %bb.1608:
	global_load_dword v3, v[11:12], off
	s_mov_b64 s[10:11], 0
	s_waitcnt vmcnt(0)
	v_cvt_f64_u32_e32 v[15:16], v3
	s_branch .LBB9_1611
.LBB9_1609:
	s_mov_b64 s[10:11], -1
                                        ; implicit-def: $vgpr15_vgpr16
	s_branch .LBB9_1614
.LBB9_1610:
	s_mov_b64 s[10:11], -1
                                        ; implicit-def: $vgpr15_vgpr16
.LBB9_1611:
	s_andn2_b64 vcc, exec, s[10:11]
	s_cbranch_vccnz .LBB9_1613
; %bb.1612:
	global_load_ushort v3, v[11:12], off
	s_waitcnt vmcnt(0)
	v_cvt_f64_u32_e32 v[15:16], v3
.LBB9_1613:
	s_mov_b64 s[10:11], 0
.LBB9_1614:
	s_andn2_b64 vcc, exec, s[10:11]
	s_cbranch_vccnz .LBB9_1624
; %bb.1615:
	global_load_ubyte v3, v[11:12], off
	s_movk_i32 s10, 0x7f
	s_waitcnt vmcnt(0)
	v_cmp_lt_i16_e32 vcc, s10, v3
	s_mov_b64 s[10:11], 0
	s_and_saveexec_b64 s[12:13], vcc
	s_xor_b64 s[12:13], exec, s[12:13]
	s_cbranch_execz .LBB9_1619
; %bb.1616:
	s_movk_i32 s10, 0x80
	v_cmp_eq_u16_e32 vcc, s10, v3
	s_mov_b64 s[10:11], -1
	s_and_saveexec_b64 s[14:15], vcc
; %bb.1617:
	s_xor_b64 s[10:11], exec, -1
; %bb.1618:
	s_or_b64 exec, exec, s[14:15]
	s_and_b64 s[10:11], s[10:11], exec
.LBB9_1619:
	s_or_saveexec_b64 s[12:13], s[12:13]
	v_bfrev_b32_e32 v15, 4
	v_mov_b32_e32 v16, 0x7ff80000
	s_xor_b64 exec, exec, s[12:13]
; %bb.1620:
	v_cmp_ne_u16_e32 vcc, 0, v3
	v_mov_b32_e32 v15, 0
	s_andn2_b64 s[10:11], s[10:11], exec
	s_and_b64 s[14:15], vcc, exec
	v_mov_b32_e32 v16, 0
	s_or_b64 s[10:11], s[10:11], s[14:15]
; %bb.1621:
	s_or_b64 exec, exec, s[12:13]
	s_and_saveexec_b64 s[12:13], s[10:11]
	s_cbranch_execz .LBB9_1623
; %bb.1622:
	v_lshlrev_b32_e32 v7, 24, v3
	v_and_b32_e32 v3, 0xffff, v3
	v_and_b32_e32 v13, 7, v3
	v_ffbh_u32_e32 v16, v13
	v_min_u32_e32 v16, 32, v16
	v_subrev_u32_e32 v17, 28, v16
	v_bfe_u32 v15, v3, 3, 4
	v_lshlrev_b32_e32 v3, v17, v3
	v_sub_u32_e32 v16, 29, v16
	v_and_b32_e32 v3, 7, v3
	v_cmp_eq_u32_e32 vcc, 0, v15
	v_cndmask_b32_e32 v15, v15, v16, vcc
	v_cndmask_b32_e32 v3, v13, v3, vcc
	v_mov_b32_e32 v13, 0x3b800000
	v_lshlrev_b32_e32 v3, 20, v3
	v_and_b32_e32 v7, 0x80000000, v7
	v_lshl_add_u32 v13, v15, 23, v13
	v_or3_b32 v3, v7, v13, v3
	v_cvt_f64_f32_e32 v[15:16], v3
.LBB9_1623:
	s_or_b64 exec, exec, s[12:13]
.LBB9_1624:
	s_mov_b64 s[10:11], -1
.LBB9_1625:
	s_mov_b64 s[12:13], 0
.LBB9_1626:
	s_and_b64 vcc, exec, s[12:13]
	s_cbranch_vccz .LBB9_1657
; %bb.1627:
	s_cmp_gt_i32 s16, 22
	s_cbranch_scc0 .LBB9_1639
; %bb.1628:
	s_cmp_lt_i32 s16, 24
	s_cbranch_scc1 .LBB9_1640
; %bb.1629:
	s_cmp_gt_i32 s16, 24
	s_cbranch_scc0 .LBB9_1641
; %bb.1630:
	global_load_ubyte v3, v[11:12], off
	s_movk_i32 s4, 0x7f
	s_waitcnt vmcnt(0)
	v_cmp_lt_i16_e32 vcc, s4, v3
	s_mov_b64 s[4:5], 0
	s_and_saveexec_b64 s[10:11], vcc
	s_xor_b64 s[10:11], exec, s[10:11]
	s_cbranch_execz .LBB9_1634
; %bb.1631:
	s_movk_i32 s4, 0x80
	v_cmp_eq_u16_e32 vcc, s4, v3
	s_mov_b64 s[4:5], -1
	s_and_saveexec_b64 s[12:13], vcc
; %bb.1632:
	s_xor_b64 s[4:5], exec, -1
; %bb.1633:
	s_or_b64 exec, exec, s[12:13]
	s_and_b64 s[4:5], s[4:5], exec
.LBB9_1634:
	s_or_saveexec_b64 s[10:11], s[10:11]
	v_bfrev_b32_e32 v15, 4
	v_mov_b32_e32 v16, 0x7ff80000
	s_xor_b64 exec, exec, s[10:11]
; %bb.1635:
	v_cmp_ne_u16_e32 vcc, 0, v3
	v_mov_b32_e32 v15, 0
	s_andn2_b64 s[4:5], s[4:5], exec
	s_and_b64 s[12:13], vcc, exec
	v_mov_b32_e32 v16, 0
	s_or_b64 s[4:5], s[4:5], s[12:13]
; %bb.1636:
	s_or_b64 exec, exec, s[10:11]
	s_and_saveexec_b64 s[10:11], s[4:5]
	s_cbranch_execz .LBB9_1638
; %bb.1637:
	v_lshlrev_b32_e32 v7, 24, v3
	v_and_b32_e32 v3, 0xffff, v3
	v_and_b32_e32 v13, 3, v3
	v_ffbh_u32_e32 v16, v13
	v_min_u32_e32 v16, 32, v16
	v_subrev_u32_e32 v17, 29, v16
	v_bfe_u32 v15, v3, 2, 5
	v_lshlrev_b32_e32 v3, v17, v3
	v_sub_u32_e32 v16, 30, v16
	v_and_b32_e32 v3, 3, v3
	v_cmp_eq_u32_e32 vcc, 0, v15
	v_cndmask_b32_e32 v15, v15, v16, vcc
	v_cndmask_b32_e32 v3, v13, v3, vcc
	v_mov_b32_e32 v13, 0x37800000
	v_lshlrev_b32_e32 v3, 21, v3
	v_and_b32_e32 v7, 0x80000000, v7
	v_lshl_add_u32 v13, v15, 23, v13
	v_or3_b32 v3, v7, v13, v3
	v_cvt_f64_f32_e32 v[15:16], v3
.LBB9_1638:
	s_or_b64 exec, exec, s[10:11]
	s_mov_b64 s[4:5], 0
	s_branch .LBB9_1642
.LBB9_1639:
	s_mov_b64 s[4:5], -1
                                        ; implicit-def: $vgpr15_vgpr16
	s_branch .LBB9_1648
.LBB9_1640:
	s_mov_b64 s[4:5], -1
                                        ; implicit-def: $vgpr15_vgpr16
	s_branch .LBB9_1645
.LBB9_1641:
	s_mov_b64 s[4:5], -1
                                        ; implicit-def: $vgpr15_vgpr16
.LBB9_1642:
	s_and_b64 vcc, exec, s[4:5]
	s_cbranch_vccz .LBB9_1644
; %bb.1643:
	global_load_ubyte v3, v[11:12], off
	s_mov_b32 s4, 0x7f800000
	s_waitcnt vmcnt(0)
	v_lshlrev_b32_e32 v3, 24, v3
	v_and_b32_e32 v7, 0x7f000000, v3
	v_ffbh_u32_e32 v13, v7
	v_min_u32_e32 v13, 32, v13
	v_sub_u32_e64 v13, v13, 4 clamp
	v_lshlrev_b32_e32 v16, v13, v7
	v_lshlrev_b32_e32 v13, 23, v13
	v_lshrrev_b32_e32 v16, 4, v16
	v_add_u32_e32 v15, 0x1000000, v7
	v_sub_u32_e32 v13, v16, v13
	v_ashrrev_i32_e32 v15, 8, v15
	v_add_u32_e32 v13, 0x3c000000, v13
	v_and_or_b32 v13, v15, s4, v13
	v_cmp_ne_u32_e32 vcc, 0, v7
	v_cndmask_b32_e32 v7, 0, v13, vcc
	s_brev_b32 s4, 1
	v_and_or_b32 v3, v3, s4, v7
	v_cvt_f64_f32_e32 v[15:16], v3
.LBB9_1644:
	s_mov_b64 s[4:5], 0
.LBB9_1645:
	s_andn2_b64 vcc, exec, s[4:5]
	s_cbranch_vccnz .LBB9_1647
; %bb.1646:
	global_load_ubyte v3, v[11:12], off
	s_movk_i32 s4, 0x7f00
	s_brev_b32 s5, 16
	s_waitcnt vmcnt(0)
	v_lshlrev_b16_e32 v7, 8, v3
	v_lshlrev_b32_e32 v3, 25, v3
	v_lshrrev_b32_e32 v13, 4, v3
	v_and_or_b32 v15, v7, s4, 0.5
	v_or_b32_e32 v13, 0x70000000, v13
	v_add_f32_e32 v15, -0.5, v15
	v_mul_f32_e32 v13, 0x7800000, v13
	v_cmp_gt_u32_e32 vcc, s5, v3
	v_bfe_i32 v7, v7, 0, 16
	v_cndmask_b32_e32 v3, v13, v15, vcc
	s_brev_b32 s4, 1
	v_and_or_b32 v3, v7, s4, v3
	v_cvt_f64_f32_e32 v[15:16], v3
.LBB9_1647:
	s_mov_b64 s[4:5], 0
	s_mov_b64 s[10:11], -1
.LBB9_1648:
	s_andn2_b64 vcc, exec, s[4:5]
	s_mov_b64 s[4:5], 0
	s_cbranch_vccnz .LBB9_1657
; %bb.1649:
	s_cmp_gt_i32 s16, 14
	s_cbranch_scc0 .LBB9_1652
; %bb.1650:
	s_cmp_eq_u32 s16, 15
	s_cbranch_scc0 .LBB9_1653
; %bb.1651:
	global_load_ushort v3, v[11:12], off
	s_mov_b64 s[0:1], 0
	s_mov_b64 s[10:11], -1
	s_waitcnt vmcnt(0)
	v_lshlrev_b32_e32 v3, 16, v3
	v_cvt_f64_f32_e32 v[15:16], v3
	s_branch .LBB9_1654
.LBB9_1652:
	s_mov_b64 s[12:13], -1
                                        ; implicit-def: $vgpr15_vgpr16
	s_branch .LBB9_1655
.LBB9_1653:
	s_mov_b64 s[0:1], -1
                                        ; implicit-def: $vgpr15_vgpr16
.LBB9_1654:
	s_mov_b64 s[12:13], 0
.LBB9_1655:
	s_and_b64 vcc, exec, s[12:13]
	s_cbranch_vccz .LBB9_1657
; %bb.1656:
	s_cmp_lg_u32 s16, 11
	s_mov_b64 s[4:5], -1
	s_cselect_b64 s[0:1], -1, 0
.LBB9_1657:
	s_and_b64 vcc, exec, s[0:1]
	s_cbranch_vccnz .LBB9_2200
; %bb.1658:
	s_andn2_b64 vcc, exec, s[4:5]
	s_cbranch_vccnz .LBB9_1660
.LBB9_1659:
	global_load_ubyte v3, v[11:12], off
	v_mov_b32_e32 v7, 0x3ff00000
	v_mov_b32_e32 v15, 0
	s_mov_b64 s[10:11], -1
	s_waitcnt vmcnt(0)
	v_cmp_ne_u16_e32 vcc, 0, v3
	v_cndmask_b32_e32 v16, 0, v7, vcc
.LBB9_1660:
	s_mov_b64 s[0:1], 0
.LBB9_1661:
	s_and_b64 vcc, exec, s[0:1]
	s_cbranch_vccz .LBB9_1710
; %bb.1662:
	s_and_b32 s4, 0xffff, s36
	s_cmp_lt_i32 s4, 5
	s_cbranch_scc1 .LBB9_1667
; %bb.1663:
	s_cmp_lt_i32 s4, 8
	s_cbranch_scc1 .LBB9_1668
; %bb.1664:
	;; [unrolled: 3-line block ×3, first 2 shown]
	s_cmp_gt_i32 s4, 9
	s_cbranch_scc0 .LBB9_1670
; %bb.1666:
	global_load_dwordx2 v[15:16], v[11:12], off
	s_mov_b64 s[0:1], 0
	s_branch .LBB9_1671
.LBB9_1667:
	s_mov_b64 s[0:1], -1
                                        ; implicit-def: $vgpr15_vgpr16
	s_branch .LBB9_1689
.LBB9_1668:
	s_mov_b64 s[0:1], -1
                                        ; implicit-def: $vgpr15_vgpr16
	s_branch .LBB9_1677
.LBB9_1669:
	s_mov_b64 s[0:1], -1
                                        ; implicit-def: $vgpr15_vgpr16
	s_branch .LBB9_1674
.LBB9_1670:
	s_mov_b64 s[0:1], -1
                                        ; implicit-def: $vgpr15_vgpr16
.LBB9_1671:
	s_andn2_b64 vcc, exec, s[0:1]
	s_cbranch_vccnz .LBB9_1673
; %bb.1672:
	global_load_dword v3, v[11:12], off
	s_waitcnt vmcnt(0)
	v_cvt_f64_f32_e32 v[15:16], v3
.LBB9_1673:
	s_mov_b64 s[0:1], 0
.LBB9_1674:
	s_andn2_b64 vcc, exec, s[0:1]
	s_cbranch_vccnz .LBB9_1676
; %bb.1675:
	global_load_dword v3, v[11:12], off
	s_waitcnt vmcnt(0)
	v_cvt_f32_f16_e32 v3, v3
	v_cvt_f64_f32_e32 v[15:16], v3
.LBB9_1676:
	s_mov_b64 s[0:1], 0
.LBB9_1677:
	s_andn2_b64 vcc, exec, s[0:1]
	s_cbranch_vccnz .LBB9_1688
; %bb.1678:
	s_cmp_lt_i32 s4, 6
	s_cbranch_scc1 .LBB9_1681
; %bb.1679:
	s_cmp_gt_i32 s4, 6
	s_cbranch_scc0 .LBB9_1682
; %bb.1680:
	global_load_dwordx2 v[15:16], v[11:12], off
	s_mov_b64 s[0:1], 0
	s_branch .LBB9_1683
.LBB9_1681:
	s_mov_b64 s[0:1], -1
                                        ; implicit-def: $vgpr15_vgpr16
	s_branch .LBB9_1686
.LBB9_1682:
	s_mov_b64 s[0:1], -1
                                        ; implicit-def: $vgpr15_vgpr16
.LBB9_1683:
	s_andn2_b64 vcc, exec, s[0:1]
	s_cbranch_vccnz .LBB9_1685
; %bb.1684:
	global_load_dword v3, v[11:12], off
	s_waitcnt vmcnt(0)
	v_cvt_f64_f32_e32 v[15:16], v3
.LBB9_1685:
	s_mov_b64 s[0:1], 0
.LBB9_1686:
	s_andn2_b64 vcc, exec, s[0:1]
	s_cbranch_vccnz .LBB9_1688
; %bb.1687:
	global_load_ushort v3, v[11:12], off
	s_waitcnt vmcnt(0)
	v_cvt_f32_f16_e32 v3, v3
	v_cvt_f64_f32_e32 v[15:16], v3
.LBB9_1688:
	s_mov_b64 s[0:1], 0
.LBB9_1689:
	s_andn2_b64 vcc, exec, s[0:1]
	s_cbranch_vccnz .LBB9_1709
; %bb.1690:
	s_cmp_lt_i32 s4, 2
	s_cbranch_scc1 .LBB9_1694
; %bb.1691:
	s_cmp_lt_i32 s4, 3
	s_cbranch_scc1 .LBB9_1695
; %bb.1692:
	s_cmp_gt_i32 s4, 3
	s_cbranch_scc0 .LBB9_1696
; %bb.1693:
	global_load_dwordx2 v[15:16], v[11:12], off
	s_mov_b64 s[0:1], 0
	s_waitcnt vmcnt(0)
	v_cvt_f64_i32_e32 v[16:17], v16
	v_cvt_f64_u32_e32 v[18:19], v15
	v_ldexp_f64 v[16:17], v[16:17], 32
	v_add_f64 v[15:16], v[16:17], v[18:19]
	s_branch .LBB9_1697
.LBB9_1694:
	s_mov_b64 s[0:1], -1
                                        ; implicit-def: $vgpr15_vgpr16
	s_branch .LBB9_1703
.LBB9_1695:
	s_mov_b64 s[0:1], -1
                                        ; implicit-def: $vgpr15_vgpr16
	s_branch .LBB9_1700
.LBB9_1696:
	s_mov_b64 s[0:1], -1
                                        ; implicit-def: $vgpr15_vgpr16
.LBB9_1697:
	s_andn2_b64 vcc, exec, s[0:1]
	s_cbranch_vccnz .LBB9_1699
; %bb.1698:
	global_load_dword v3, v[11:12], off
	s_waitcnt vmcnt(0)
	v_cvt_f64_i32_e32 v[15:16], v3
.LBB9_1699:
	s_mov_b64 s[0:1], 0
.LBB9_1700:
	s_andn2_b64 vcc, exec, s[0:1]
	s_cbranch_vccnz .LBB9_1702
; %bb.1701:
	global_load_sshort v3, v[11:12], off
	s_waitcnt vmcnt(0)
	v_cvt_f64_i32_e32 v[15:16], v3
.LBB9_1702:
	s_mov_b64 s[0:1], 0
.LBB9_1703:
	s_andn2_b64 vcc, exec, s[0:1]
	s_cbranch_vccnz .LBB9_1709
; %bb.1704:
	s_cmp_gt_i32 s4, 0
	s_cbranch_scc0 .LBB9_1706
; %bb.1705:
	global_load_sbyte v3, v[11:12], off
	s_mov_b64 s[0:1], 0
	s_waitcnt vmcnt(0)
	v_cvt_f64_i32_e32 v[15:16], v3
	s_branch .LBB9_1707
.LBB9_1706:
	s_mov_b64 s[0:1], -1
                                        ; implicit-def: $vgpr15_vgpr16
.LBB9_1707:
	s_andn2_b64 vcc, exec, s[0:1]
	s_cbranch_vccnz .LBB9_1709
; %bb.1708:
	global_load_ubyte v3, v[11:12], off
	s_waitcnt vmcnt(0)
	v_cvt_f64_u32_e32 v[15:16], v3
.LBB9_1709:
	s_mov_b64 s[10:11], -1
.LBB9_1710:
	s_andn2_b64 vcc, exec, s[10:11]
	s_cbranch_vccnz .LBB9_1797
; %bb.1711:
	s_waitcnt vmcnt(0)
	v_cmp_neq_f64_e32 vcc, 0, v[15:16]
	v_mov_b32_e32 v12, 0
	v_mov_b32_e32 v13, 0x7ff00000
	s_and_saveexec_b64 s[4:5], vcc
	s_cbranch_execz .LBB9_1719
; %bb.1712:
	v_cmp_ngt_f64_e32 vcc, 0, v[15:16]
	v_mov_b32_e32 v12, 0
	v_mov_b32_e32 v13, 0x7ff80000
	s_and_saveexec_b64 s[10:11], vcc
	s_cbranch_execz .LBB9_1718
; %bb.1713:
	v_cmp_ge_f64_e32 vcc, 2.0, v[15:16]
                                        ; implicit-def: $vgpr12_vgpr13
	s_and_saveexec_b64 s[0:1], vcc
	s_xor_b64 s[12:13], exec, s[0:1]
	s_cbranch_execz .LBB9_1715
; %bb.1714:
	v_fma_f64 v[11:12], v[15:16], 0.5, -2.0
	v_mov_b32_e32 v17, 0x977da589
	v_mov_b32_e32 v18, 0x3c833362
	s_mov_b32 s1, 0xbc545cb7
	s_mov_b32 s0, 0x2134d0ef
	;; [unrolled: 1-line block ×5, first 2 shown]
	v_fma_f64 v[17:18], v[11:12], s[0:1], v[17:18]
	s_mov_b32 s1, 0x3c545cb7
	s_mov_b32 s36, 0x8a12100e
	;; [unrolled: 1-line block ×7, first 2 shown]
	v_fma_f64 v[19:20], v[11:12], v[17:18], s[0:1]
	s_mov_b32 s0, 0x721ebbb4
	s_mov_b32 s1, 0xbcb184eb
	;; [unrolled: 1-line block ×7, first 2 shown]
	v_add_f64 v[19:20], v[19:20], s[0:1]
	s_mov_b32 s0, 0x93f65eba
	s_mov_b32 s1, 0x3cdee6d8
	;; [unrolled: 1-line block ×7, first 2 shown]
	v_fma_f64 v[17:18], v[11:12], v[19:20], -v[17:18]
	s_mov_b32 s15, 0x3f54b82e
	v_mov_b32_e32 v7, 0xfff00000
	v_add_f64 v[17:18], v[17:18], s[0:1]
	s_mov_b32 s0, 0xc297fbeb
	s_mov_b32 s1, 0xbd0a5022
	v_fma_f64 v[19:20], v[11:12], v[17:18], -v[19:20]
	v_add_f64 v[19:20], v[19:20], s[0:1]
	s_mov_b32 s0, 0x4b262627
	s_mov_b32 s1, 0x3d359b46
	v_fma_f64 v[17:18], v[11:12], v[19:20], -v[17:18]
	;; [unrolled: 4-line block ×4, first 2 shown]
	v_add_f64 v[21:22], v[17:18], s[0:1]
	v_mul_f64 v[17:18], v[15:16], 0.5
	s_mov_b32 s0, 0x7a946abc
	s_mov_b32 s1, 0xbdb2fc95
	v_fma_f64 v[19:20], v[11:12], v[21:22], -v[19:20]
	v_frexp_mant_f64_e32 v[23:24], v[17:18]
	v_add_f64 v[19:20], v[19:20], s[0:1]
	v_cmp_gt_f64_e32 vcc, s[16:17], v[23:24]
	s_mov_b32 s0, 0xcc743c10
	s_mov_b32 s1, 0x3dda98be
	;; [unrolled: 1-line block ×3, first 2 shown]
	v_fma_f64 v[21:22], v[11:12], v[19:20], -v[21:22]
	v_cndmask_b32_e64 v3, 0, 1, vcc
	v_ldexp_f64 v[23:24], v[23:24], v3
	v_frexp_exp_i32_f64_e32 v3, v[17:18]
	v_add_f64 v[21:22], v[21:22], s[0:1]
	s_mov_b32 s0, 0x13ae9556
	v_add_f64 v[25:26], v[23:24], 1.0
	s_mov_b32 s1, 0xbe01d4fe
	v_add_f64 v[31:32], v[23:24], -1.0
	v_subbrev_co_u32_e32 v3, vcc, 0, v3, vcc
	v_cvt_f64_i32_e32 v[41:42], v3
	v_fma_f64 v[19:20], v[11:12], v[21:22], -v[19:20]
	v_rcp_f64_e32 v[27:28], v[25:26]
	v_add_f64 v[33:34], v[25:26], -1.0
	v_mul_f64 v[45:46], v[41:42], s[34:35]
	v_add_f64 v[19:20], v[19:20], s[0:1]
	s_mov_b32 s0, 0xa454cb34
	s_mov_b32 s1, 0x3e26d903
	v_add_f64 v[23:24], v[23:24], -v[33:34]
	v_fma_f64 v[21:22], v[11:12], v[19:20], -v[21:22]
	v_fma_f64 v[29:30], -v[25:26], v[27:28], 1.0
	v_fma_f64 v[27:28], v[29:30], v[27:28], v[27:28]
	v_add_f64 v[29:30], v[21:22], s[0:1]
	s_mov_b32 s0, 0x8c0b30ab
	s_mov_b32 s1, 0xbe4beaf6
	v_fma_f64 v[21:22], -v[25:26], v[27:28], 1.0
	v_fma_f64 v[19:20], v[11:12], v[29:30], -v[19:20]
	v_fma_f64 v[27:28], v[21:22], v[27:28], v[27:28]
	v_add_f64 v[19:20], v[19:20], s[0:1]
	s_mov_b32 s0, 0x9d4d6435
	s_mov_b32 s1, 0x3e703b76
	v_mul_f64 v[21:22], v[31:32], v[27:28]
	v_fma_f64 v[29:30], v[11:12], v[19:20], -v[29:30]
	v_mul_f64 v[35:36], v[25:26], v[21:22]
	v_add_f64 v[29:30], v[29:30], s[0:1]
	s_mov_b32 s0, 0x8f227f8d
	s_mov_b32 s1, 0xbe91ec63
	v_fma_f64 v[25:26], v[21:22], v[25:26], -v[35:36]
	v_fma_f64 v[19:20], v[11:12], v[29:30], -v[19:20]
	v_fma_f64 v[23:24], v[21:22], v[23:24], v[25:26]
	v_add_f64 v[19:20], v[19:20], s[0:1]
	s_mov_b32 s0, 0x978cf4ac
	s_mov_b32 s1, 0x3eb2bf24
	v_add_f64 v[25:26], v[35:36], v[23:24]
	v_fma_f64 v[29:30], v[11:12], v[19:20], -v[29:30]
	v_add_f64 v[33:34], v[31:32], -v[25:26]
	v_add_f64 v[29:30], v[29:30], s[0:1]
	v_add_f64 v[35:36], v[25:26], -v[35:36]
	s_mov_b32 s0, 0xcba56427
	s_mov_b32 s1, 0xbed2866f
	v_add_f64 v[31:32], v[31:32], -v[33:34]
	v_fma_f64 v[19:20], v[11:12], v[29:30], -v[19:20]
	v_add_f64 v[23:24], v[35:36], -v[23:24]
	v_mov_b32_e32 v35, 0x6b47b09a
	v_mov_b32_e32 v36, 0x3fc38538
	v_add_f64 v[25:26], v[31:32], -v[25:26]
	v_add_f64 v[19:20], v[19:20], s[0:1]
	s_mov_b32 s0, 0xbe9a2859
	s_mov_b32 s1, 0x3ef13f58
	v_add_f64 v[23:24], v[23:24], v[25:26]
	v_fma_f64 v[25:26], v[11:12], v[19:20], -v[29:30]
	v_add_f64 v[23:24], v[33:34], v[23:24]
	v_add_f64 v[29:30], v[25:26], s[0:1]
	s_mov_b32 s0, 0x59c41d5a
	s_mov_b32 s1, 0xbf0e2b26
	v_mul_f64 v[23:24], v[27:28], v[23:24]
	v_fma_f64 v[31:32], v[11:12], v[29:30], -v[19:20]
	v_fma_f64 v[19:20], v[15:16], v[15:16], -2.0
	v_mov_b32_e32 v27, 0xc384c2aa
	v_mov_b32_e32 v28, 0x3d27fb0a
	v_add_f64 v[25:26], v[21:22], v[23:24]
	v_add_f64 v[31:32], v[31:32], s[0:1]
	s_mov_b32 s0, 0xbf559e2b
	s_mov_b32 s1, 0x3fc3ab76
	v_fma_f64 v[27:28], v[19:20], s[26:27], v[27:28]
	s_mov_b32 s27, 0xbca3cee1
	v_mul_f64 v[33:34], v[25:26], v[25:26]
	v_fma_f64 v[29:30], v[11:12], v[31:32], -v[29:30]
	v_ldexp_f64 v[39:40], v[25:26], 1
	v_add_f64 v[21:22], v[25:26], -v[21:22]
	v_fma_f64 v[43:44], v[19:20], v[27:28], s[26:27]
	v_fma_f64 v[35:36], v[33:34], s[0:1], v[35:36]
	s_mov_b32 s0, 0x74107cab
	s_mov_b32 s1, 0x3f28b51b
	v_add_f64 v[29:30], v[29:30], s[0:1]
	s_mov_b32 s0, 0xd7f4df2e
	s_mov_b32 s1, 0x3fc7474d
	v_mul_f64 v[37:38], v[25:26], v[33:34]
	v_add_f64 v[23:24], v[23:24], -v[21:22]
	v_fma_f64 v[35:36], v[33:34], v[35:36], s[0:1]
	s_mov_b32 s0, 0x16291751
	s_mov_b32 s1, 0x3fcc71c0
	v_fma_f64 v[31:32], v[11:12], v[29:30], -v[31:32]
	v_ldexp_f64 v[23:24], v[23:24], 1
	v_fma_f64 v[35:36], v[33:34], v[35:36], s[0:1]
	s_mov_b32 s0, 0x1f15eb52
	s_mov_b32 s1, 0xbf42e2fd
	v_add_f64 v[31:32], v[31:32], s[0:1]
	s_mov_b32 s0, 0x9b27acf1
	s_mov_b32 s1, 0x3fd24924
	v_fma_f64 v[35:36], v[33:34], v[35:36], s[0:1]
	s_mov_b32 s0, 0x554a9085
	s_mov_b32 s1, 0x3fa26bf6
	v_fma_f64 v[29:30], v[11:12], v[31:32], -v[29:30]
	v_fma_f64 v[35:36], v[33:34], v[35:36], s[30:31]
	s_mov_b32 s31, 0x3c7abc9e
	s_mov_b32 s30, 0x3b39803f
	v_add_f64 v[29:30], v[29:30], s[36:37]
	s_mov_b32 s36, 0x201aa849
	s_mov_b32 s37, 0xbf71b65e
	v_fma_f64 v[33:34], v[33:34], v[35:36], s[16:17]
	s_mov_b32 s16, 0x652b82fe
	s_mov_b32 s17, 0x3ff71547
	v_fma_f64 v[31:32], v[11:12], v[29:30], -v[31:32]
	v_mov_b32_e32 v35, 0xfca7ab0c
	v_mov_b32_e32 v36, 0x3e928af3
	v_mul_f64 v[33:34], v[37:38], v[33:34]
	v_mul_f64 v[37:38], v[15:16], s[16:17]
	s_mov_b32 s16, 0xf3dde3dd
	v_add_f64 v[31:32], v[31:32], s[36:37]
	s_mov_b32 s17, 0x3f859961
	v_add_f64 v[25:26], v[39:40], v[33:34]
	v_rndne_f64_e32 v[21:22], v[37:38]
	v_add_f64 v[37:38], v[43:44], s[24:25]
	v_fma_f64 v[29:30], v[11:12], v[31:32], -v[29:30]
	v_fma_f64 v[43:44], v[41:42], s[34:35], -v[45:46]
	s_mov_b32 s35, 0xbfe62e42
	s_mov_b32 s24, 0xf121b6f0
	s_mov_b32 s25, 0xbf984e9e
	v_add_f64 v[39:40], v[25:26], -v[39:40]
	v_fma_f64 v[15:16], v[21:22], s[34:35], v[15:16]
	v_fma_f64 v[27:28], v[19:20], v[37:38], -v[27:28]
	v_add_f64 v[29:30], v[29:30], s[16:17]
	s_mov_b32 s16, 0x6a5dcb37
	s_mov_b32 s17, 0x3e5ade15
	v_cvt_i32_f64_e32 v3, v[21:22]
	v_add_f64 v[33:34], v[33:34], -v[39:40]
	v_fma_f64 v[39:40], v[41:42], s[30:31], v[43:44]
	s_mov_b32 s31, 0xbc7abc9e
	v_fma_f64 v[31:32], v[11:12], v[29:30], -v[31:32]
	v_fma_f64 v[15:16], v[21:22], s[30:31], v[15:16]
	v_add_f64 v[27:28], v[27:28], s[22:23]
	s_mov_b32 s22, 0x623fde64
	s_mov_b32 s23, 0x3ec71dee
	v_add_f64 v[33:34], v[23:24], v[33:34]
	v_add_f64 v[41:42], v[45:46], v[39:40]
	;; [unrolled: 1-line block ×3, first 2 shown]
	v_fma_f64 v[35:36], v[15:16], s[16:17], v[35:36]
	v_fma_f64 v[37:38], v[19:20], v[27:28], -v[37:38]
	s_mov_b32 s24, 0xcea8a32d
	s_mov_b32 s25, 0x3fa93e8a
	v_add_f64 v[43:44], v[25:26], v[33:34]
	s_mov_b32 s16, 0x7c89e6b0
	s_mov_b32 s17, 0x3efa0199
	v_fma_f64 v[29:30], v[11:12], v[31:32], -v[29:30]
	v_fma_f64 v[35:36], v[15:16], v[35:36], s[22:23]
	v_add_f64 v[37:38], v[37:38], s[20:21]
	s_mov_b32 s20, 0x14761f6e
	s_mov_b32 s21, 0x3f2a01a0
	v_add_f64 v[23:24], v[41:42], v[43:44]
	v_add_f64 v[45:46], v[41:42], -v[45:46]
	v_add_f64 v[25:26], v[43:44], -v[25:26]
	v_add_f64 v[29:30], v[29:30], s[24:25]
	v_fma_f64 v[35:36], v[15:16], v[35:36], s[16:17]
	v_fma_f64 v[27:28], v[19:20], v[37:38], -v[27:28]
	s_mov_b32 s16, 0x342d06ea
	s_mov_b32 s17, 0xbfb84b70
	v_add_f64 v[47:48], v[23:24], -v[41:42]
	s_mov_b32 s22, 0x1852b7b0
	s_mov_b32 s23, 0x3f56c16c
	v_fma_f64 v[31:32], v[11:12], v[29:30], -v[31:32]
	v_fma_f64 v[35:36], v[15:16], v[35:36], s[20:21]
	v_add_f64 v[27:28], v[27:28], s[18:19]
	v_add_f64 v[39:40], v[39:40], -v[45:46]
	v_add_f64 v[25:26], v[33:34], -v[25:26]
	;; [unrolled: 1-line block ×4, first 2 shown]
	s_mov_b32 s18, 0x77ac88c0
	v_add_f64 v[31:32], v[31:32], s[16:17]
	v_fma_f64 v[35:36], v[15:16], v[35:36], s[22:23]
	s_mov_b32 s16, 0x11122322
	v_fma_f64 v[37:38], v[19:20], v[27:28], -v[37:38]
	s_mov_b32 s17, 0x3f811111
	v_add_f64 v[41:42], v[41:42], -v[49:50]
	s_mov_b32 s19, 0x3fc5f7ac
	v_add_f64 v[43:44], v[39:40], v[25:26]
	v_fma_f64 v[29:30], v[11:12], v[31:32], -v[29:30]
	v_fma_f64 v[35:36], v[15:16], v[35:36], s[16:17]
	s_mov_b32 s16, 0x55555511
	v_add_f64 v[37:38], v[37:38], s[14:15]
	s_mov_b32 s14, 0x555502a1
	v_add_f64 v[33:34], v[33:34], v[41:42]
	s_mov_b32 s15, 0x3fa55555
	v_add_f64 v[41:42], v[43:44], -v[39:40]
	v_add_f64 v[29:30], v[29:30], s[18:19]
	v_fma_f64 v[35:36], v[15:16], v[35:36], s[14:15]
	s_mov_b32 s14, 0xc057cd8d
	v_fma_f64 v[27:28], v[19:20], v[37:38], -v[27:28]
	s_mov_b32 s17, 0x3fc55555
	v_add_f64 v[33:34], v[43:44], v[33:34]
	s_mov_b32 s15, 0xbfd37feb
	v_add_f64 v[43:44], v[43:44], -v[41:42]
	v_fma_f64 v[31:32], v[11:12], v[29:30], -v[31:32]
	v_fma_f64 v[35:36], v[15:16], v[35:36], s[16:17]
	v_add_f64 v[25:26], v[25:26], -v[41:42]
	v_add_f64 v[27:28], v[27:28], s[0:1]
	s_mov_b32 s0, 11
	v_add_f64 v[45:46], v[23:24], v[33:34]
	s_mov_b32 s1, 0x3fe00000
	v_add_f64 v[39:40], v[39:40], -v[43:44]
	v_add_f64 v[31:32], v[31:32], s[14:15]
	v_fma_f64 v[35:36], v[15:16], v[35:36], s[0:1]
	s_mov_b32 s0, 0x9035a22a
	s_mov_b32 s1, 0x3fe5a84e
	;; [unrolled: 1-line block ×3, first 2 shown]
	v_add_f64 v[23:24], v[45:46], -v[23:24]
	s_mov_b32 s15, 0x3fd608d8
	v_add_f64 v[25:26], v[25:26], v[39:40]
	v_fma_f64 v[11:12], v[11:12], v[31:32], -v[29:30]
	v_fma_f64 v[31:32], v[19:20], v[27:28], -v[37:38]
	v_add_f64 v[23:24], v[33:34], -v[23:24]
	v_fma_f64 v[33:34], v[15:16], v[35:36], 1.0
	v_add_f64 v[11:12], v[11:12], s[0:1]
	v_add_f64 v[31:32], v[31:32], s[14:15]
	s_mov_b32 s0, 0xe9d2f61f
	s_mov_b32 s14, 0
	;; [unrolled: 1-line block ×3, first 2 shown]
	v_add_f64 v[23:24], v[25:26], v[23:24]
	v_fma_f64 v[15:16], v[15:16], v[33:34], 1.0
	s_mov_b32 s15, 0x7ff00000
	v_add_f64 v[11:12], v[11:12], -v[29:30]
	v_fma_f64 v[19:20], v[19:20], v[31:32], -v[27:28]
	v_cmp_neq_f64_e32 vcc, s[14:15], v[17:18]
	v_add_f64 v[21:22], v[45:46], v[23:24]
	v_ldexp_f64 v[15:16], v[15:16], v3
	v_mov_b32_e32 v3, 0x7ff00000
	v_mul_f64 v[11:12], v[11:12], 0.5
	v_add_f64 v[19:20], v[19:20], s[0:1]
	v_cmp_neq_f64_e64 s[0:1], 0, v[17:18]
	v_cndmask_b32_e32 v3, v3, v22, vcc
	v_mul_f64 v[11:12], v[15:16], v[11:12]
	v_add_f64 v[17:18], v[19:20], -v[27:28]
	s_and_b64 vcc, s[0:1], vcc
	v_cndmask_b32_e64 v20, v7, v3, s[0:1]
	v_cndmask_b32_e32 v19, 0, v21, vcc
	v_mul_f64 v[11:12], v[19:20], v[11:12]
	v_fma_f64 v[11:12], v[17:18], 0.5, -v[11:12]
	v_mul_f64 v[12:13], v[15:16], v[11:12]
                                        ; implicit-def: $vgpr15_vgpr16
.LBB9_1715:
	s_andn2_saveexec_b64 s[0:1], s[12:13]
	s_cbranch_execz .LBB9_1717
; %bb.1716:
	s_mov_b32 s12, 0
	s_mov_b32 s13, 0x40200000
	v_div_scale_f64 v[11:12], s[14:15], v[15:16], v[15:16], s[12:13]
	v_mov_b32_e32 v3, 0x100
	v_mov_b32_e32 v7, 0x260
	v_rcp_f64_e32 v[17:18], v[11:12]
	v_fma_f64 v[19:20], -v[11:12], v[17:18], 1.0
	v_fma_f64 v[17:18], v[17:18], v[19:20], v[17:18]
	v_div_scale_f64 v[19:20], vcc, s[12:13], v[15:16], s[12:13]
	v_fma_f64 v[21:22], -v[11:12], v[17:18], 1.0
	v_fma_f64 v[17:18], v[17:18], v[21:22], v[17:18]
	v_mul_f64 v[21:22], v[19:20], v[17:18]
	v_fma_f64 v[11:12], -v[11:12], v[21:22], v[19:20]
	v_div_fmas_f64 v[11:12], v[11:12], v[17:18], v[21:22]
	v_mov_b32_e32 v17, 0x93812603
	v_mov_b32_e32 v18, 0xbc72fecc
	v_div_fixup_f64 v[11:12], v[11:12], v[15:16], s[12:13]
	s_mov_b32 s13, 0x3c5871a5
	s_mov_b32 s12, 0xcf8c9ee1
	v_add_f64 v[11:12], v[11:12], -2.0
	v_fma_f64 v[17:18], v[11:12], s[12:13], v[17:18]
	s_mov_b32 s13, 0xbc5871a5
	v_fma_f64 v[19:20], v[11:12], v[17:18], s[12:13]
	s_mov_b32 s12, 0x41a8cdf4
	s_mov_b32 s13, 0x3c8e092e
	v_add_f64 v[19:20], v[19:20], s[12:13]
	s_mov_b32 s12, 0x74d77641
	s_mov_b32 s13, 0xbca82f94
	v_fma_f64 v[17:18], v[11:12], v[19:20], -v[17:18]
	v_add_f64 v[17:18], v[17:18], s[12:13]
	s_mov_b32 s12, 0x6b94785b
	s_mov_b32 s13, 0x3cc3dbf9
	v_fma_f64 v[19:20], v[11:12], v[17:18], -v[19:20]
	;; [unrolled: 4-line block ×17, first 2 shown]
	v_add_f64 v[17:18], v[17:18], s[12:13]
	s_mov_b32 s12, 0
	s_brev_b32 s13, 8
	v_cmp_gt_f64_e32 vcc, s[12:13], v[15:16]
	s_mov_b32 s12, 0xcc7470a9
	s_mov_b32 s13, 0x3eed413f
	v_fma_f64 v[19:20], v[11:12], v[17:18], -v[19:20]
	v_cndmask_b32_e32 v3, 0, v3, vcc
	v_ldexp_f64 v[15:16], v[15:16], v3
	v_mov_b32_e32 v3, 0xffffff80
	v_cndmask_b32_e32 v3, 0, v3, vcc
	v_add_f64 v[19:20], v[19:20], s[12:13]
	s_mov_b32 s12, 0xe7889f42
	s_mov_b32 s13, 0xbf20d797
	v_rsq_f64_e32 v[21:22], v[15:16]
	v_cmp_class_f64_e32 vcc, v[15:16], v7
	v_fma_f64 v[17:18], v[11:12], v[19:20], -v[17:18]
	v_add_f64 v[17:18], v[17:18], s[12:13]
	s_mov_b32 s12, 0xfca79342
	s_mov_b32 s13, 0x3f59b891
	v_mul_f64 v[23:24], v[15:16], v[21:22]
	v_mul_f64 v[21:22], v[21:22], 0.5
	v_fma_f64 v[19:20], v[11:12], v[17:18], -v[19:20]
	v_fma_f64 v[25:26], -v[21:22], v[23:24], 0.5
	v_add_f64 v[19:20], v[19:20], s[12:13]
	s_mov_b32 s12, 0x2d4ff71e
	s_mov_b32 s13, 0xbfa019f7
	v_fma_f64 v[23:24], v[23:24], v[25:26], v[23:24]
	v_fma_f64 v[21:22], v[21:22], v[25:26], v[21:22]
	v_fma_f64 v[17:18], v[11:12], v[19:20], -v[17:18]
	v_fma_f64 v[25:26], -v[23:24], v[23:24], v[15:16]
	v_add_f64 v[17:18], v[17:18], s[12:13]
	s_mov_b32 s12, 0x9f4e6907
	s_mov_b32 s13, 0x400385bd
	v_fma_f64 v[23:24], v[25:26], v[21:22], v[23:24]
	v_fma_f64 v[11:12], v[11:12], v[17:18], -v[19:20]
	v_fma_f64 v[17:18], -v[23:24], v[23:24], v[15:16]
	v_add_f64 v[11:12], v[11:12], s[12:13]
	v_fma_f64 v[17:18], v[17:18], v[21:22], v[23:24]
	v_add_f64 v[11:12], v[11:12], -v[19:20]
	v_ldexp_f64 v[17:18], v[17:18], v3
	v_mul_f64 v[11:12], v[11:12], 0.5
	v_cndmask_b32_e32 v16, v18, v16, vcc
	v_cndmask_b32_e32 v15, v17, v15, vcc
	v_div_scale_f64 v[17:18], s[12:13], v[15:16], v[15:16], v[11:12]
	v_div_scale_f64 v[23:24], vcc, v[11:12], v[15:16], v[11:12]
	v_rcp_f64_e32 v[19:20], v[17:18]
	v_fma_f64 v[21:22], -v[17:18], v[19:20], 1.0
	v_fma_f64 v[19:20], v[19:20], v[21:22], v[19:20]
	v_fma_f64 v[21:22], -v[17:18], v[19:20], 1.0
	v_fma_f64 v[19:20], v[19:20], v[21:22], v[19:20]
	v_mul_f64 v[21:22], v[23:24], v[19:20]
	v_fma_f64 v[17:18], -v[17:18], v[21:22], v[23:24]
	v_div_fmas_f64 v[17:18], v[17:18], v[19:20], v[21:22]
	v_div_fixup_f64 v[12:13], v[17:18], v[15:16], v[11:12]
.LBB9_1717:
	s_or_b64 exec, exec, s[0:1]
.LBB9_1718:
	s_or_b64 exec, exec, s[10:11]
.LBB9_1719:
	s_or_b64 exec, exec, s[4:5]
	s_bfe_u32 s16, s33, 0x80008
	v_mov_b32_e32 v3, s9
	v_add_co_u32_e32 v15, vcc, s8, v2
	s_cmp_lt_i32 s16, 11
	v_addc_co_u32_e32 v16, vcc, 0, v3, vcc
	s_cbranch_scc1 .LBB9_1843
; %bb.1720:
	s_and_b32 s17, 0xffff, s16
	s_mov_b64 s[12:13], -1
	s_mov_b64 s[4:5], 0
	s_cmp_gt_i32 s17, 25
	s_mov_b64 s[10:11], 0
	s_mov_b64 s[0:1], 0
	s_cbranch_scc0 .LBB9_1753
; %bb.1721:
	s_cmp_gt_i32 s17, 28
	s_cbranch_scc0 .LBB9_1736
; %bb.1722:
	s_cmp_gt_i32 s17, 43
	;; [unrolled: 3-line block ×3, first 2 shown]
	s_cbranch_scc0 .LBB9_1726
; %bb.1724:
	s_mov_b64 s[0:1], -1
	s_mov_b64 s[12:13], 0
	s_cmp_eq_u32 s17, 46
	s_cbranch_scc0 .LBB9_1726
; %bb.1725:
	v_cvt_f32_f64_e32 v2, v[0:1]
	s_movk_i32 s0, 0x7fff
	v_mov_b32_e32 v3, 0x7fc0
	s_mov_b64 s[10:11], -1
	v_bfe_u32 v7, v2, 16, 1
	v_cmp_o_f32_e32 vcc, v2, v2
	v_add3_u32 v2, v2, v7, s0
	v_cndmask_b32_sdwa v2, v3, v2, vcc dst_sel:DWORD dst_unused:UNUSED_PAD src0_sel:DWORD src1_sel:WORD_1
	global_store_dword v[15:16], v2, off
	s_mov_b64 s[0:1], 0
.LBB9_1726:
	s_and_b64 vcc, exec, s[12:13]
	s_cbranch_vccz .LBB9_1731
; %bb.1727:
	s_cmp_eq_u32 s17, 44
	s_mov_b64 s[0:1], -1
	s_cbranch_scc0 .LBB9_1731
; %bb.1728:
	v_cvt_f32_f64_e32 v2, v[0:1]
	s_movk_i32 s0, 0xff
	v_mov_b32_e32 v7, 0xff
	v_bfe_u32 v3, v2, 23, 8
	v_cmp_ne_u32_e32 vcc, s0, v3
	s_and_saveexec_b64 s[10:11], vcc
; %bb.1729:
	s_mov_b32 s0, 0x3fffff
	v_lshrrev_b32_e32 v7, 23, v2
	v_and_b32_e32 v11, 0x400000, v2
	v_and_or_b32 v2, v2, s0, v3
	v_cmp_ne_u32_e32 vcc, 0, v11
	v_cmp_ne_u32_e64 s[0:1], 0, v2
	s_and_b64 s[0:1], vcc, s[0:1]
	v_cndmask_b32_e64 v2, 0, 1, s[0:1]
	v_add_u32_e32 v7, v7, v2
; %bb.1730:
	s_or_b64 exec, exec, s[10:11]
	s_mov_b64 s[0:1], 0
	s_mov_b64 s[10:11], -1
	global_store_byte v[15:16], v7, off
.LBB9_1731:
	s_mov_b64 s[12:13], 0
.LBB9_1732:
	s_and_b64 vcc, exec, s[12:13]
	s_cbranch_vccz .LBB9_1735
; %bb.1733:
	s_cmp_eq_u32 s17, 29
	s_mov_b64 s[0:1], -1
	s_cbranch_scc0 .LBB9_1735
; %bb.1734:
	v_trunc_f64_e32 v[2:3], v[0:1]
	s_movk_i32 s0, 0xffe0
	s_mov_b64 s[10:11], -1
	v_ldexp_f64 v[17:18], v[2:3], s0
	s_mov_b32 s0, 0
	s_mov_b32 s1, 0xc1f00000
	v_floor_f64_e32 v[17:18], v[17:18]
	v_fma_f64 v[2:3], v[17:18], s[0:1], v[2:3]
	v_cvt_u32_f64_e32 v18, v[17:18]
	s_mov_b64 s[0:1], 0
	v_cvt_u32_f64_e32 v17, v[2:3]
	global_store_dwordx2 v[15:16], v[17:18], off
.LBB9_1735:
	s_mov_b64 s[12:13], 0
.LBB9_1736:
	s_and_b64 vcc, exec, s[12:13]
	s_cbranch_vccz .LBB9_1752
; %bb.1737:
	s_cmp_lt_i32 s17, 27
	s_mov_b64 s[10:11], -1
	s_cbranch_scc1 .LBB9_1743
; %bb.1738:
	v_cvt_u32_f64_e32 v2, v[0:1]
	s_cmp_gt_i32 s17, 27
	s_cbranch_scc0 .LBB9_1740
; %bb.1739:
	s_mov_b64 s[10:11], 0
	global_store_dword v[15:16], v2, off
.LBB9_1740:
	s_andn2_b64 vcc, exec, s[10:11]
	s_cbranch_vccnz .LBB9_1742
; %bb.1741:
	global_store_short v[15:16], v2, off
.LBB9_1742:
	s_mov_b64 s[10:11], 0
.LBB9_1743:
	s_andn2_b64 vcc, exec, s[10:11]
	s_cbranch_vccnz .LBB9_1751
; %bb.1744:
	v_cvt_f32_f64_e32 v2, v[0:1]
	s_mov_b32 s10, 0x43800000
	v_mov_b32_e32 v7, 0x80
	v_and_b32_e32 v3, 0x7fffffff, v2
	v_cmp_gt_u32_e32 vcc, s10, v3
	s_and_saveexec_b64 s[10:11], vcc
	s_cbranch_execz .LBB9_1750
; %bb.1745:
	s_mov_b32 s12, 0x3bffffff
	v_cmp_lt_u32_e32 vcc, s12, v3
	s_mov_b64 s[12:13], 0
                                        ; implicit-def: $vgpr3
	s_and_saveexec_b64 s[14:15], vcc
	s_xor_b64 s[14:15], exec, s[14:15]
	s_cbranch_execz .LBB9_2201
; %bb.1746:
	v_bfe_u32 v3, v2, 20, 1
	s_mov_b32 s18, 0x487ffff
	v_add3_u32 v3, v2, v3, s18
	s_mov_b64 s[12:13], exec
	v_lshrrev_b32_e32 v3, 20, v3
	s_andn2_saveexec_b64 s[14:15], s[14:15]
	s_cbranch_execnz .LBB9_2202
.LBB9_1747:
	s_or_b64 exec, exec, s[14:15]
	v_mov_b32_e32 v7, 0
	s_and_saveexec_b64 s[14:15], s[12:13]
.LBB9_1748:
	v_lshrrev_b32_e32 v2, 24, v2
	s_movk_i32 s12, 0x80
	v_and_or_b32 v7, v2, s12, v3
.LBB9_1749:
	s_or_b64 exec, exec, s[14:15]
.LBB9_1750:
	s_or_b64 exec, exec, s[10:11]
	global_store_byte v[15:16], v7, off
.LBB9_1751:
	s_mov_b64 s[10:11], -1
.LBB9_1752:
	s_mov_b64 s[12:13], 0
.LBB9_1753:
	s_and_b64 vcc, exec, s[12:13]
	s_cbranch_vccz .LBB9_1793
; %bb.1754:
	s_cmp_gt_i32 s17, 22
	s_mov_b64 s[4:5], -1
	s_cbranch_scc0 .LBB9_1786
; %bb.1755:
	s_cmp_lt_i32 s17, 24
	s_cbranch_scc1 .LBB9_1775
; %bb.1756:
	s_cmp_gt_i32 s17, 24
	s_cbranch_scc0 .LBB9_1764
; %bb.1757:
	v_cvt_f32_f64_e32 v2, v[0:1]
	s_mov_b32 s4, 0x47800000
	v_mov_b32_e32 v7, 0x80
	v_and_b32_e32 v3, 0x7fffffff, v2
	v_cmp_gt_u32_e32 vcc, s4, v3
	s_and_saveexec_b64 s[4:5], vcc
	s_cbranch_execz .LBB9_1763
; %bb.1758:
	s_mov_b32 s10, 0x37ffffff
	v_cmp_lt_u32_e32 vcc, s10, v3
	s_mov_b64 s[10:11], 0
                                        ; implicit-def: $vgpr3
	s_and_saveexec_b64 s[12:13], vcc
	s_xor_b64 s[12:13], exec, s[12:13]
	s_cbranch_execz .LBB9_2204
; %bb.1759:
	v_bfe_u32 v3, v2, 21, 1
	s_mov_b32 s14, 0x88fffff
	v_add3_u32 v3, v2, v3, s14
	s_mov_b64 s[10:11], exec
	v_lshrrev_b32_e32 v3, 21, v3
	s_andn2_saveexec_b64 s[12:13], s[12:13]
	s_cbranch_execnz .LBB9_2205
.LBB9_1760:
	s_or_b64 exec, exec, s[12:13]
	v_mov_b32_e32 v7, 0
	s_and_saveexec_b64 s[12:13], s[10:11]
.LBB9_1761:
	v_lshrrev_b32_e32 v2, 24, v2
	s_movk_i32 s10, 0x80
	v_and_or_b32 v7, v2, s10, v3
.LBB9_1762:
	s_or_b64 exec, exec, s[12:13]
.LBB9_1763:
	s_or_b64 exec, exec, s[4:5]
	s_mov_b64 s[4:5], 0
	global_store_byte v[15:16], v7, off
.LBB9_1764:
	s_and_b64 vcc, exec, s[4:5]
	s_cbranch_vccz .LBB9_1774
; %bb.1765:
	v_cvt_f32_f64_e32 v2, v[0:1]
	s_mov_b32 s4, 0x43f00000
                                        ; implicit-def: $vgpr3
	v_and_b32_e32 v7, 0x7fffffff, v2
	v_cmp_gt_u32_e32 vcc, s4, v7
	s_and_saveexec_b64 s[4:5], vcc
	s_xor_b64 s[4:5], exec, s[4:5]
	s_cbranch_execz .LBB9_1771
; %bb.1766:
	s_mov_b32 s10, 0x3c7fffff
	v_cmp_lt_u32_e32 vcc, s10, v7
                                        ; implicit-def: $vgpr3
	s_and_saveexec_b64 s[10:11], vcc
	s_xor_b64 s[10:11], exec, s[10:11]
; %bb.1767:
	v_bfe_u32 v3, v2, 20, 1
	s_mov_b32 s12, 0x407ffff
	v_add3_u32 v3, v2, v3, s12
	v_lshrrev_b32_e32 v7, 20, v3
	v_and_b32_e32 v3, 0xff00000, v3
	s_mov_b32 s12, 0x7f00000
	v_mov_b32_e32 v11, 0x7e
	v_cmp_ne_u32_e32 vcc, s12, v3
	v_cndmask_b32_e32 v3, v11, v7, vcc
; %bb.1768:
	s_andn2_saveexec_b64 s[10:11], s[10:11]
; %bb.1769:
	s_mov_b32 s12, 0x46800000
	v_add_f32_e64 v3, |v2|, s12
; %bb.1770:
	s_or_b64 exec, exec, s[10:11]
                                        ; implicit-def: $vgpr7
.LBB9_1771:
	s_andn2_saveexec_b64 s[4:5], s[4:5]
; %bb.1772:
	s_mov_b32 s10, 0x7f800000
	v_mov_b32_e32 v3, 0x7e
	v_mov_b32_e32 v11, 0x7f
	v_cmp_lt_u32_e32 vcc, s10, v7
	v_cndmask_b32_e32 v3, v3, v11, vcc
; %bb.1773:
	s_or_b64 exec, exec, s[4:5]
	v_lshrrev_b32_e32 v2, 24, v2
	s_movk_i32 s4, 0x80
	v_and_or_b32 v2, v2, s4, v3
	global_store_byte v[15:16], v2, off
.LBB9_1774:
	s_mov_b64 s[4:5], 0
.LBB9_1775:
	s_andn2_b64 vcc, exec, s[4:5]
	s_cbranch_vccnz .LBB9_1785
; %bb.1776:
	v_cvt_f32_f64_e32 v2, v[0:1]
	s_mov_b32 s4, 0x47800000
                                        ; implicit-def: $vgpr3
	v_and_b32_e32 v7, 0x7fffffff, v2
	v_cmp_gt_u32_e32 vcc, s4, v7
	s_and_saveexec_b64 s[4:5], vcc
	s_xor_b64 s[4:5], exec, s[4:5]
	s_cbranch_execz .LBB9_1782
; %bb.1777:
	s_mov_b32 s10, 0x387fffff
	v_cmp_lt_u32_e32 vcc, s10, v7
                                        ; implicit-def: $vgpr3
	s_and_saveexec_b64 s[10:11], vcc
	s_xor_b64 s[10:11], exec, s[10:11]
; %bb.1778:
	v_bfe_u32 v3, v2, 21, 1
	s_mov_b32 s12, 0x80fffff
	v_add3_u32 v3, v2, v3, s12
	v_lshrrev_b32_e32 v3, 21, v3
; %bb.1779:
	s_andn2_saveexec_b64 s[10:11], s[10:11]
; %bb.1780:
	s_mov_b32 s12, 0x43000000
	v_add_f32_e64 v3, |v2|, s12
; %bb.1781:
	s_or_b64 exec, exec, s[10:11]
                                        ; implicit-def: $vgpr7
.LBB9_1782:
	s_andn2_saveexec_b64 s[4:5], s[4:5]
; %bb.1783:
	s_mov_b32 s10, 0x7f800000
	v_mov_b32_e32 v3, 0x7c
	v_mov_b32_e32 v11, 0x7f
	v_cmp_lt_u32_e32 vcc, s10, v7
	v_cndmask_b32_e32 v3, v3, v11, vcc
; %bb.1784:
	s_or_b64 exec, exec, s[4:5]
	v_lshrrev_b32_e32 v2, 24, v2
	s_movk_i32 s4, 0x80
	v_and_or_b32 v2, v2, s4, v3
	global_store_byte v[15:16], v2, off
.LBB9_1785:
	s_mov_b64 s[4:5], 0
	s_mov_b64 s[10:11], -1
.LBB9_1786:
	s_andn2_b64 vcc, exec, s[4:5]
	s_mov_b64 s[4:5], 0
	s_cbranch_vccnz .LBB9_1793
; %bb.1787:
	s_cmp_gt_i32 s17, 14
	s_mov_b64 s[12:13], -1
	s_cbranch_scc0 .LBB9_1791
; %bb.1788:
	s_cmp_eq_u32 s17, 15
	s_mov_b64 s[0:1], -1
	s_cbranch_scc0 .LBB9_1790
; %bb.1789:
	v_cvt_f32_f64_e32 v2, v[0:1]
	s_movk_i32 s0, 0x7fff
	v_mov_b32_e32 v3, 0x7fc0
	s_mov_b64 s[10:11], -1
	v_bfe_u32 v7, v2, 16, 1
	v_cmp_o_f32_e32 vcc, v2, v2
	v_add3_u32 v2, v2, v7, s0
	v_cndmask_b32_sdwa v2, v3, v2, vcc dst_sel:DWORD dst_unused:UNUSED_PAD src0_sel:DWORD src1_sel:WORD_1
	global_store_short v[15:16], v2, off
	s_mov_b64 s[0:1], 0
.LBB9_1790:
	s_mov_b64 s[12:13], 0
.LBB9_1791:
	s_and_b64 vcc, exec, s[12:13]
	s_cbranch_vccz .LBB9_1793
; %bb.1792:
	s_cmp_lg_u32 s17, 11
	s_mov_b64 s[4:5], -1
	s_cselect_b64 s[0:1], -1, 0
.LBB9_1793:
	s_and_b64 vcc, exec, s[0:1]
	s_cbranch_vccnz .LBB9_2203
; %bb.1794:
	s_andn2_b64 vcc, exec, s[4:5]
	s_cbranch_vccnz .LBB9_1796
.LBB9_1795:
	v_cmp_neq_f64_e32 vcc, 0, v[0:1]
	s_mov_b64 s[10:11], -1
	v_cndmask_b32_e64 v2, 0, 1, vcc
	global_store_byte v[15:16], v2, off
.LBB9_1796:
	s_mov_b64 s[0:1], 0
	s_branch .LBB9_1844
.LBB9_1797:
	s_mov_b64 s[0:1], 0
                                        ; implicit-def: $vgpr0_vgpr1
                                        ; implicit-def: $sgpr16
                                        ; implicit-def: $vgpr12_vgpr13
.LBB9_1798:
	s_mov_b64 s[4:5], 0
.LBB9_1799:
	s_and_b64 s[40:41], s[4:5], exec
	s_andn2_b64 s[4:5], s[6:7], exec
	s_and_b64 s[2:3], s[2:3], exec
	s_and_b64 s[0:1], s[0:1], exec
	s_or_b64 s[6:7], s[4:5], s[2:3]
.LBB9_1800:
	s_or_b64 exec, exec, s[28:29]
	s_and_saveexec_b64 s[2:3], s[6:7]
	s_cbranch_execz .LBB9_1803
; %bb.1801:
	; divergent unreachable
	s_or_b64 exec, exec, s[2:3]
	s_and_saveexec_b64 s[2:3], s[40:41]
	s_xor_b64 s[2:3], exec, s[2:3]
	s_cbranch_execnz .LBB9_1804
.LBB9_1802:
	s_or_b64 exec, exec, s[2:3]
	s_and_saveexec_b64 s[2:3], s[0:1]
	s_cbranch_execnz .LBB9_1805
	s_branch .LBB9_1842
.LBB9_1803:
	s_or_b64 exec, exec, s[2:3]
	s_and_saveexec_b64 s[2:3], s[40:41]
	s_xor_b64 s[2:3], exec, s[2:3]
	s_cbranch_execz .LBB9_1802
.LBB9_1804:
	s_waitcnt vmcnt(0)
	v_cmp_neq_f64_e32 vcc, 0, v[12:13]
	v_cndmask_b32_e64 v2, 0, 1, vcc
	global_store_byte v[0:1], v2, off
	s_or_b64 exec, exec, s[2:3]
	s_and_saveexec_b64 s[2:3], s[0:1]
	s_cbranch_execz .LBB9_1842
.LBB9_1805:
	s_sext_i32_i16 s2, s16
	s_cmp_lt_i32 s2, 5
	s_mov_b64 s[0:1], -1
	s_cbranch_scc1 .LBB9_1826
; %bb.1806:
	s_cmp_lt_i32 s2, 8
	s_cbranch_scc1 .LBB9_1816
; %bb.1807:
	s_cmp_lt_i32 s2, 9
	s_cbranch_scc1 .LBB9_1813
; %bb.1808:
	s_cmp_gt_i32 s2, 9
	s_cbranch_scc0 .LBB9_1810
; %bb.1809:
	v_mov_b32_e32 v14, 0
	s_waitcnt vmcnt(0)
	v_mov_b32_e32 v15, v14
	global_store_dwordx4 v[0:1], v[12:15], off
	s_mov_b64 s[0:1], 0
.LBB9_1810:
	s_andn2_b64 vcc, exec, s[0:1]
	s_cbranch_vccnz .LBB9_1812
; %bb.1811:
	s_waitcnt vmcnt(0)
	v_cvt_f32_f64_e32 v2, v[12:13]
	v_mov_b32_e32 v3, 0
	global_store_dwordx2 v[0:1], v[2:3], off
.LBB9_1812:
	s_mov_b64 s[0:1], 0
.LBB9_1813:
	s_andn2_b64 vcc, exec, s[0:1]
	s_cbranch_vccnz .LBB9_1815
; %bb.1814:
	s_movk_i32 s0, 0x1ff
	s_waitcnt vmcnt(0)
	v_and_or_b32 v2, v13, s0, v12
	v_cmp_ne_u32_e32 vcc, 0, v2
	v_cndmask_b32_e64 v2, 0, 1, vcc
	v_lshrrev_b32_e32 v3, 8, v13
	s_movk_i32 s0, 0xffe
	v_bfe_u32 v4, v13, 20, 11
	v_and_or_b32 v2, v3, s0, v2
	v_sub_u32_e32 v5, 0x3f1, v4
	v_or_b32_e32 v3, 0x1000, v2
	v_med3_i32 v5, v5, 0, 13
	v_lshrrev_b32_e32 v6, v5, v3
	v_lshlrev_b32_e32 v5, v5, v6
	v_cmp_ne_u32_e32 vcc, v5, v3
	v_cndmask_b32_e64 v3, 0, 1, vcc
	v_add_u32_e32 v4, 0xfffffc10, v4
	v_or_b32_e32 v3, v6, v3
	v_lshl_or_b32 v5, v4, 12, v2
	v_cmp_gt_i32_e32 vcc, 1, v4
	v_cndmask_b32_e32 v3, v5, v3, vcc
	v_and_b32_e32 v5, 7, v3
	v_cmp_lt_i32_e32 vcc, 5, v5
	v_cndmask_b32_e64 v6, 0, 1, vcc
	v_cmp_eq_u32_e32 vcc, 3, v5
	v_cndmask_b32_e64 v5, 0, 1, vcc
	v_or_b32_e32 v5, v5, v6
	v_lshrrev_b32_e32 v3, 2, v3
	v_add_u32_e32 v3, v3, v5
	v_mov_b32_e32 v5, 0x7c00
	v_cmp_gt_i32_e32 vcc, 31, v4
	v_cndmask_b32_e32 v3, v5, v3, vcc
	v_mov_b32_e32 v6, 0x7e00
	v_cmp_ne_u32_e32 vcc, 0, v2
	s_movk_i32 s0, 0x40f
	v_cndmask_b32_e32 v2, v5, v6, vcc
	v_cmp_eq_u32_e32 vcc, s0, v4
	v_cndmask_b32_e32 v2, v3, v2, vcc
	v_lshrrev_b32_e32 v3, 16, v13
	s_mov_b32 s0, 0x8000
	v_and_or_b32 v2, v3, s0, v2
	v_and_b32_e32 v2, 0xffff, v2
	global_store_dword v[0:1], v2, off
.LBB9_1815:
	s_mov_b64 s[0:1], 0
.LBB9_1816:
	s_andn2_b64 vcc, exec, s[0:1]
	s_cbranch_vccnz .LBB9_1825
; %bb.1817:
	s_sext_i32_i16 s2, s16
	s_cmp_lt_i32 s2, 6
	s_mov_b64 s[0:1], -1
	s_cbranch_scc1 .LBB9_1823
; %bb.1818:
	s_cmp_gt_i32 s2, 6
	s_cbranch_scc0 .LBB9_1820
; %bb.1819:
	s_waitcnt vmcnt(0)
	global_store_dwordx2 v[0:1], v[12:13], off
	s_mov_b64 s[0:1], 0
.LBB9_1820:
	s_andn2_b64 vcc, exec, s[0:1]
	s_cbranch_vccnz .LBB9_1822
; %bb.1821:
	s_waitcnt vmcnt(0)
	v_cvt_f32_f64_e32 v2, v[12:13]
	global_store_dword v[0:1], v2, off
.LBB9_1822:
	s_mov_b64 s[0:1], 0
.LBB9_1823:
	s_andn2_b64 vcc, exec, s[0:1]
	s_cbranch_vccnz .LBB9_1825
; %bb.1824:
	s_movk_i32 s0, 0x1ff
	s_waitcnt vmcnt(0)
	v_and_or_b32 v2, v13, s0, v12
	v_cmp_ne_u32_e32 vcc, 0, v2
	v_cndmask_b32_e64 v2, 0, 1, vcc
	v_lshrrev_b32_e32 v3, 8, v13
	s_movk_i32 s0, 0xffe
	v_bfe_u32 v4, v13, 20, 11
	v_and_or_b32 v2, v3, s0, v2
	v_sub_u32_e32 v5, 0x3f1, v4
	v_or_b32_e32 v3, 0x1000, v2
	v_med3_i32 v5, v5, 0, 13
	v_lshrrev_b32_e32 v6, v5, v3
	v_lshlrev_b32_e32 v5, v5, v6
	v_cmp_ne_u32_e32 vcc, v5, v3
	v_cndmask_b32_e64 v3, 0, 1, vcc
	v_add_u32_e32 v4, 0xfffffc10, v4
	v_or_b32_e32 v3, v6, v3
	v_lshl_or_b32 v5, v4, 12, v2
	v_cmp_gt_i32_e32 vcc, 1, v4
	v_cndmask_b32_e32 v3, v5, v3, vcc
	v_and_b32_e32 v5, 7, v3
	v_cmp_lt_i32_e32 vcc, 5, v5
	v_cndmask_b32_e64 v6, 0, 1, vcc
	v_cmp_eq_u32_e32 vcc, 3, v5
	v_cndmask_b32_e64 v5, 0, 1, vcc
	v_or_b32_e32 v5, v5, v6
	v_lshrrev_b32_e32 v3, 2, v3
	v_add_u32_e32 v3, v3, v5
	v_mov_b32_e32 v5, 0x7c00
	v_cmp_gt_i32_e32 vcc, 31, v4
	v_cndmask_b32_e32 v3, v5, v3, vcc
	v_mov_b32_e32 v6, 0x7e00
	v_cmp_ne_u32_e32 vcc, 0, v2
	s_movk_i32 s0, 0x40f
	v_cndmask_b32_e32 v2, v5, v6, vcc
	v_cmp_eq_u32_e32 vcc, s0, v4
	v_cndmask_b32_e32 v2, v3, v2, vcc
	v_lshrrev_b32_e32 v3, 16, v13
	s_mov_b32 s0, 0x8000
	v_and_or_b32 v2, v3, s0, v2
	global_store_short v[0:1], v2, off
.LBB9_1825:
	s_mov_b64 s[0:1], 0
.LBB9_1826:
	s_andn2_b64 vcc, exec, s[0:1]
	s_cbranch_vccnz .LBB9_1842
; %bb.1827:
	s_sext_i32_i16 s2, s16
	s_cmp_lt_i32 s2, 2
	s_mov_b64 s[0:1], -1
	s_cbranch_scc1 .LBB9_1837
; %bb.1828:
	s_cmp_lt_i32 s2, 3
	s_cbranch_scc1 .LBB9_1834
; %bb.1829:
	s_cmp_gt_i32 s2, 3
	s_cbranch_scc0 .LBB9_1831
; %bb.1830:
	s_waitcnt vmcnt(0)
	v_trunc_f64_e32 v[2:3], v[12:13]
	s_movk_i32 s0, 0xffe0
	v_ldexp_f64 v[4:5], v[2:3], s0
	s_mov_b32 s0, 0
	s_mov_b32 s1, 0xc1f00000
	v_floor_f64_e32 v[4:5], v[4:5]
	v_fma_f64 v[2:3], v[4:5], s[0:1], v[2:3]
	v_cvt_i32_f64_e32 v4, v[4:5]
	s_mov_b64 s[0:1], 0
	v_cvt_u32_f64_e32 v3, v[2:3]
	global_store_dwordx2 v[0:1], v[3:4], off
.LBB9_1831:
	s_andn2_b64 vcc, exec, s[0:1]
	s_cbranch_vccnz .LBB9_1833
; %bb.1832:
	s_waitcnt vmcnt(0)
	v_cvt_i32_f64_e32 v2, v[12:13]
	global_store_dword v[0:1], v2, off
.LBB9_1833:
	s_mov_b64 s[0:1], 0
.LBB9_1834:
	s_andn2_b64 vcc, exec, s[0:1]
	s_cbranch_vccnz .LBB9_1836
; %bb.1835:
	s_waitcnt vmcnt(0)
	v_cvt_i32_f64_e32 v2, v[12:13]
	global_store_short v[0:1], v2, off
.LBB9_1836:
	s_mov_b64 s[0:1], 0
.LBB9_1837:
	s_andn2_b64 vcc, exec, s[0:1]
	s_cbranch_vccnz .LBB9_1842
; %bb.1838:
	s_sext_i32_i16 s0, s16
	s_cmp_gt_i32 s0, 0
	s_mov_b64 s[0:1], -1
	s_cbranch_scc0 .LBB9_1840
; %bb.1839:
	s_waitcnt vmcnt(0)
	v_cvt_i32_f64_e32 v2, v[12:13]
	s_mov_b64 s[0:1], 0
	global_store_byte v[0:1], v2, off
.LBB9_1840:
	s_andn2_b64 vcc, exec, s[0:1]
	s_cbranch_vccnz .LBB9_1842
; %bb.1841:
	s_waitcnt vmcnt(0)
	v_trunc_f64_e32 v[2:3], v[12:13]
	s_movk_i32 s0, 0xffe0
	v_ldexp_f64 v[4:5], v[2:3], s0
	s_mov_b32 s0, 0
	s_mov_b32 s1, 0xc1f00000
	v_floor_f64_e32 v[4:5], v[4:5]
	v_fma_f64 v[2:3], v[4:5], s[0:1], v[2:3]
	v_cvt_u32_f64_e32 v2, v[2:3]
	global_store_byte v[0:1], v2, off
	s_endpgm
.LBB9_1842:
	s_endpgm
.LBB9_1843:
	s_mov_b64 s[0:1], -1
	s_mov_b64 s[10:11], 0
.LBB9_1844:
	s_and_b64 vcc, exec, s[0:1]
	s_cbranch_vccz .LBB9_1883
; %bb.1845:
	s_and_b32 s4, 0xffff, s16
	s_cmp_lt_i32 s4, 5
	s_mov_b64 s[0:1], -1
	s_cbranch_scc1 .LBB9_1866
; %bb.1846:
	s_cmp_lt_i32 s4, 8
	s_cbranch_scc1 .LBB9_1856
; %bb.1847:
	s_cmp_lt_i32 s4, 9
	s_cbranch_scc1 .LBB9_1853
; %bb.1848:
	s_cmp_gt_i32 s4, 9
	s_cbranch_scc0 .LBB9_1850
; %bb.1849:
	v_mov_b32_e32 v2, 0
	v_mov_b32_e32 v3, v2
	global_store_dwordx4 v[15:16], v[0:3], off
	s_mov_b64 s[0:1], 0
.LBB9_1850:
	s_andn2_b64 vcc, exec, s[0:1]
	s_cbranch_vccnz .LBB9_1852
; %bb.1851:
	v_cvt_f32_f64_e32 v2, v[0:1]
	v_mov_b32_e32 v3, 0
	global_store_dwordx2 v[15:16], v[2:3], off
.LBB9_1852:
	s_mov_b64 s[0:1], 0
.LBB9_1853:
	s_andn2_b64 vcc, exec, s[0:1]
	s_cbranch_vccnz .LBB9_1855
; %bb.1854:
	s_movk_i32 s0, 0x1ff
	v_and_or_b32 v2, v1, s0, v0
	v_cmp_ne_u32_e32 vcc, 0, v2
	v_cndmask_b32_e64 v2, 0, 1, vcc
	v_lshrrev_b32_e32 v3, 8, v1
	s_movk_i32 s0, 0xffe
	v_bfe_u32 v7, v1, 20, 11
	v_and_or_b32 v2, v3, s0, v2
	v_sub_u32_e32 v11, 0x3f1, v7
	v_or_b32_e32 v3, 0x1000, v2
	v_med3_i32 v11, v11, 0, 13
	v_lshrrev_b32_e32 v17, v11, v3
	v_lshlrev_b32_e32 v11, v11, v17
	v_cmp_ne_u32_e32 vcc, v11, v3
	v_cndmask_b32_e64 v3, 0, 1, vcc
	v_add_u32_e32 v7, 0xfffffc10, v7
	v_or_b32_e32 v3, v17, v3
	v_lshl_or_b32 v11, v7, 12, v2
	v_cmp_gt_i32_e32 vcc, 1, v7
	v_cndmask_b32_e32 v3, v11, v3, vcc
	v_and_b32_e32 v11, 7, v3
	v_cmp_lt_i32_e32 vcc, 5, v11
	v_cndmask_b32_e64 v17, 0, 1, vcc
	v_cmp_eq_u32_e32 vcc, 3, v11
	v_cndmask_b32_e64 v11, 0, 1, vcc
	v_or_b32_e32 v11, v11, v17
	v_lshrrev_b32_e32 v3, 2, v3
	v_add_u32_e32 v3, v3, v11
	v_mov_b32_e32 v11, 0x7c00
	v_cmp_gt_i32_e32 vcc, 31, v7
	v_cndmask_b32_e32 v3, v11, v3, vcc
	v_mov_b32_e32 v17, 0x7e00
	v_cmp_ne_u32_e32 vcc, 0, v2
	s_movk_i32 s0, 0x40f
	v_cndmask_b32_e32 v2, v11, v17, vcc
	v_cmp_eq_u32_e32 vcc, s0, v7
	v_cndmask_b32_e32 v2, v3, v2, vcc
	v_lshrrev_b32_e32 v3, 16, v1
	s_mov_b32 s0, 0x8000
	v_and_or_b32 v2, v3, s0, v2
	v_and_b32_e32 v2, 0xffff, v2
	global_store_dword v[15:16], v2, off
.LBB9_1855:
	s_mov_b64 s[0:1], 0
.LBB9_1856:
	s_andn2_b64 vcc, exec, s[0:1]
	s_cbranch_vccnz .LBB9_1865
; %bb.1857:
	s_cmp_lt_i32 s4, 6
	s_mov_b64 s[0:1], -1
	s_cbranch_scc1 .LBB9_1863
; %bb.1858:
	s_cmp_gt_i32 s4, 6
	s_cbranch_scc0 .LBB9_1860
; %bb.1859:
	global_store_dwordx2 v[15:16], v[0:1], off
	s_mov_b64 s[0:1], 0
.LBB9_1860:
	s_andn2_b64 vcc, exec, s[0:1]
	s_cbranch_vccnz .LBB9_1862
; %bb.1861:
	v_cvt_f32_f64_e32 v2, v[0:1]
	global_store_dword v[15:16], v2, off
.LBB9_1862:
	s_mov_b64 s[0:1], 0
.LBB9_1863:
	s_andn2_b64 vcc, exec, s[0:1]
	s_cbranch_vccnz .LBB9_1865
; %bb.1864:
	s_movk_i32 s0, 0x1ff
	v_and_or_b32 v2, v1, s0, v0
	v_cmp_ne_u32_e32 vcc, 0, v2
	v_cndmask_b32_e64 v2, 0, 1, vcc
	v_lshrrev_b32_e32 v3, 8, v1
	s_movk_i32 s0, 0xffe
	v_bfe_u32 v7, v1, 20, 11
	v_and_or_b32 v2, v3, s0, v2
	v_sub_u32_e32 v11, 0x3f1, v7
	v_or_b32_e32 v3, 0x1000, v2
	v_med3_i32 v11, v11, 0, 13
	v_lshrrev_b32_e32 v17, v11, v3
	v_lshlrev_b32_e32 v11, v11, v17
	v_cmp_ne_u32_e32 vcc, v11, v3
	v_cndmask_b32_e64 v3, 0, 1, vcc
	v_add_u32_e32 v7, 0xfffffc10, v7
	v_or_b32_e32 v3, v17, v3
	v_lshl_or_b32 v11, v7, 12, v2
	v_cmp_gt_i32_e32 vcc, 1, v7
	v_cndmask_b32_e32 v3, v11, v3, vcc
	v_and_b32_e32 v11, 7, v3
	v_cmp_lt_i32_e32 vcc, 5, v11
	v_cndmask_b32_e64 v17, 0, 1, vcc
	v_cmp_eq_u32_e32 vcc, 3, v11
	v_cndmask_b32_e64 v11, 0, 1, vcc
	v_or_b32_e32 v11, v11, v17
	v_lshrrev_b32_e32 v3, 2, v3
	v_add_u32_e32 v3, v3, v11
	v_mov_b32_e32 v11, 0x7c00
	v_cmp_gt_i32_e32 vcc, 31, v7
	v_cndmask_b32_e32 v3, v11, v3, vcc
	v_mov_b32_e32 v17, 0x7e00
	v_cmp_ne_u32_e32 vcc, 0, v2
	s_movk_i32 s0, 0x40f
	v_cndmask_b32_e32 v2, v11, v17, vcc
	v_cmp_eq_u32_e32 vcc, s0, v7
	v_cndmask_b32_e32 v2, v3, v2, vcc
	v_lshrrev_b32_e32 v3, 16, v1
	s_mov_b32 s0, 0x8000
	v_and_or_b32 v2, v3, s0, v2
	global_store_short v[15:16], v2, off
.LBB9_1865:
	s_mov_b64 s[0:1], 0
.LBB9_1866:
	s_andn2_b64 vcc, exec, s[0:1]
	s_cbranch_vccnz .LBB9_1882
; %bb.1867:
	s_cmp_lt_i32 s4, 2
	s_mov_b64 s[0:1], -1
	s_cbranch_scc1 .LBB9_1877
; %bb.1868:
	s_cmp_lt_i32 s4, 3
	s_cbranch_scc1 .LBB9_1874
; %bb.1869:
	s_cmp_gt_i32 s4, 3
	s_cbranch_scc0 .LBB9_1871
; %bb.1870:
	v_trunc_f64_e32 v[2:3], v[0:1]
	s_movk_i32 s0, 0xffe0
	v_ldexp_f64 v[17:18], v[2:3], s0
	s_mov_b32 s0, 0
	s_mov_b32 s1, 0xc1f00000
	v_floor_f64_e32 v[17:18], v[17:18]
	v_fma_f64 v[2:3], v[17:18], s[0:1], v[2:3]
	v_cvt_i32_f64_e32 v18, v[17:18]
	s_mov_b64 s[0:1], 0
	v_cvt_u32_f64_e32 v17, v[2:3]
	global_store_dwordx2 v[15:16], v[17:18], off
.LBB9_1871:
	s_andn2_b64 vcc, exec, s[0:1]
	s_cbranch_vccnz .LBB9_1873
; %bb.1872:
	v_cvt_i32_f64_e32 v2, v[0:1]
	global_store_dword v[15:16], v2, off
.LBB9_1873:
	s_mov_b64 s[0:1], 0
.LBB9_1874:
	s_andn2_b64 vcc, exec, s[0:1]
	s_cbranch_vccnz .LBB9_1876
; %bb.1875:
	v_cvt_i32_f64_e32 v2, v[0:1]
	global_store_short v[15:16], v2, off
.LBB9_1876:
	s_mov_b64 s[0:1], 0
.LBB9_1877:
	s_andn2_b64 vcc, exec, s[0:1]
	s_cbranch_vccnz .LBB9_1882
; %bb.1878:
	s_cmp_gt_i32 s4, 0
	s_mov_b64 s[0:1], -1
	s_cbranch_scc0 .LBB9_1880
; %bb.1879:
	v_cvt_i32_f64_e32 v2, v[0:1]
	s_mov_b64 s[0:1], 0
	global_store_byte v[15:16], v2, off
.LBB9_1880:
	s_andn2_b64 vcc, exec, s[0:1]
	s_cbranch_vccnz .LBB9_1882
; %bb.1881:
	v_trunc_f64_e32 v[0:1], v[0:1]
	s_movk_i32 s0, 0xffe0
	v_ldexp_f64 v[2:3], v[0:1], s0
	s_mov_b32 s0, 0
	s_mov_b32 s1, 0xc1f00000
	v_floor_f64_e32 v[2:3], v[2:3]
	v_fma_f64 v[0:1], v[2:3], s[0:1], v[0:1]
	v_cvt_u32_f64_e32 v0, v[0:1]
	global_store_byte v[15:16], v0, off
.LBB9_1882:
	s_mov_b64 s[10:11], -1
.LBB9_1883:
	s_andn2_b64 vcc, exec, s[10:11]
	s_cbranch_vccnz .LBB9_2198
; %bb.1884:
	s_lshr_b32 s0, s33, 8
	s_and_b32 s16, s0, 0xff
	v_mov_b32_e32 v1, s9
	v_add_co_u32_e32 v0, vcc, s8, v6
	s_cmp_lt_i32 s16, 11
	v_addc_co_u32_e32 v1, vcc, 0, v1, vcc
	s_cbranch_scc1 .LBB9_1962
; %bb.1885:
	s_and_b32 s17, 0xffff, s16
	s_mov_b64 s[12:13], -1
	s_mov_b64 s[4:5], 0
	s_cmp_gt_i32 s17, 25
	s_mov_b64 s[10:11], 0
	s_mov_b64 s[0:1], 0
	s_cbranch_scc0 .LBB9_1918
; %bb.1886:
	s_cmp_gt_i32 s17, 28
	s_cbranch_scc0 .LBB9_1901
; %bb.1887:
	s_cmp_gt_i32 s17, 43
	;; [unrolled: 3-line block ×3, first 2 shown]
	s_cbranch_scc0 .LBB9_1891
; %bb.1889:
	s_mov_b64 s[0:1], -1
	s_mov_b64 s[12:13], 0
	s_cmp_eq_u32 s17, 46
	s_cbranch_scc0 .LBB9_1891
; %bb.1890:
	v_cvt_f32_f64_e32 v2, v[4:5]
	s_movk_i32 s0, 0x7fff
	v_mov_b32_e32 v3, 0x7fc0
	s_mov_b64 s[10:11], -1
	v_bfe_u32 v6, v2, 16, 1
	v_cmp_o_f32_e32 vcc, v2, v2
	v_add3_u32 v2, v2, v6, s0
	v_cndmask_b32_sdwa v2, v3, v2, vcc dst_sel:DWORD dst_unused:UNUSED_PAD src0_sel:DWORD src1_sel:WORD_1
	global_store_dword v[0:1], v2, off
	s_mov_b64 s[0:1], 0
.LBB9_1891:
	s_and_b64 vcc, exec, s[12:13]
	s_cbranch_vccz .LBB9_1896
; %bb.1892:
	s_cmp_eq_u32 s17, 44
	s_mov_b64 s[0:1], -1
	s_cbranch_scc0 .LBB9_1896
; %bb.1893:
	v_cvt_f32_f64_e32 v2, v[4:5]
	s_movk_i32 s0, 0xff
	v_mov_b32_e32 v6, 0xff
	v_bfe_u32 v3, v2, 23, 8
	v_cmp_ne_u32_e32 vcc, s0, v3
	s_and_saveexec_b64 s[10:11], vcc
; %bb.1894:
	s_mov_b32 s0, 0x3fffff
	v_lshrrev_b32_e32 v6, 23, v2
	v_and_b32_e32 v7, 0x400000, v2
	v_and_or_b32 v2, v2, s0, v3
	v_cmp_ne_u32_e32 vcc, 0, v7
	v_cmp_ne_u32_e64 s[0:1], 0, v2
	s_and_b64 s[0:1], vcc, s[0:1]
	v_cndmask_b32_e64 v2, 0, 1, s[0:1]
	v_add_u32_e32 v6, v6, v2
; %bb.1895:
	s_or_b64 exec, exec, s[10:11]
	s_mov_b64 s[0:1], 0
	s_mov_b64 s[10:11], -1
	global_store_byte v[0:1], v6, off
.LBB9_1896:
	s_mov_b64 s[12:13], 0
.LBB9_1897:
	s_and_b64 vcc, exec, s[12:13]
	s_cbranch_vccz .LBB9_1900
; %bb.1898:
	s_cmp_eq_u32 s17, 29
	s_mov_b64 s[0:1], -1
	s_cbranch_scc0 .LBB9_1900
; %bb.1899:
	v_trunc_f64_e32 v[2:3], v[4:5]
	s_movk_i32 s0, 0xffe0
	s_mov_b64 s[10:11], -1
	v_ldexp_f64 v[6:7], v[2:3], s0
	s_mov_b32 s0, 0
	s_mov_b32 s1, 0xc1f00000
	v_floor_f64_e32 v[6:7], v[6:7]
	v_fma_f64 v[2:3], v[6:7], s[0:1], v[2:3]
	v_cvt_u32_f64_e32 v7, v[6:7]
	s_mov_b64 s[0:1], 0
	v_cvt_u32_f64_e32 v6, v[2:3]
	global_store_dwordx2 v[0:1], v[6:7], off
.LBB9_1900:
	s_mov_b64 s[12:13], 0
.LBB9_1901:
	s_and_b64 vcc, exec, s[12:13]
	s_cbranch_vccz .LBB9_1917
; %bb.1902:
	s_cmp_lt_i32 s17, 27
	s_mov_b64 s[10:11], -1
	s_cbranch_scc1 .LBB9_1908
; %bb.1903:
	s_cmp_gt_i32 s17, 27
	s_cbranch_scc0 .LBB9_1905
; %bb.1904:
	v_cvt_u32_f64_e32 v2, v[4:5]
	s_mov_b64 s[10:11], 0
	global_store_dword v[0:1], v2, off
.LBB9_1905:
	s_andn2_b64 vcc, exec, s[10:11]
	s_cbranch_vccnz .LBB9_1907
; %bb.1906:
	v_cvt_u32_f64_e32 v2, v[4:5]
	global_store_short v[0:1], v2, off
.LBB9_1907:
	s_mov_b64 s[10:11], 0
.LBB9_1908:
	s_andn2_b64 vcc, exec, s[10:11]
	s_cbranch_vccnz .LBB9_1916
; %bb.1909:
	v_cvt_f32_f64_e32 v2, v[4:5]
	s_mov_b32 s10, 0x43800000
	v_mov_b32_e32 v6, 0x80
	v_and_b32_e32 v3, 0x7fffffff, v2
	v_cmp_gt_u32_e32 vcc, s10, v3
	s_and_saveexec_b64 s[10:11], vcc
	s_cbranch_execz .LBB9_1915
; %bb.1910:
	s_mov_b32 s12, 0x3bffffff
	v_cmp_lt_u32_e32 vcc, s12, v3
	s_mov_b64 s[12:13], 0
                                        ; implicit-def: $vgpr3
	s_and_saveexec_b64 s[14:15], vcc
	s_xor_b64 s[14:15], exec, s[14:15]
	s_cbranch_execz .LBB9_2206
; %bb.1911:
	v_bfe_u32 v3, v2, 20, 1
	s_mov_b32 s18, 0x487ffff
	v_add3_u32 v3, v2, v3, s18
	s_mov_b64 s[12:13], exec
	v_lshrrev_b32_e32 v3, 20, v3
	s_andn2_saveexec_b64 s[14:15], s[14:15]
	s_cbranch_execnz .LBB9_2207
.LBB9_1912:
	s_or_b64 exec, exec, s[14:15]
	v_mov_b32_e32 v6, 0
	s_and_saveexec_b64 s[14:15], s[12:13]
.LBB9_1913:
	v_lshrrev_b32_e32 v2, 24, v2
	s_movk_i32 s12, 0x80
	v_and_or_b32 v6, v2, s12, v3
.LBB9_1914:
	s_or_b64 exec, exec, s[14:15]
.LBB9_1915:
	s_or_b64 exec, exec, s[10:11]
	global_store_byte v[0:1], v6, off
.LBB9_1916:
	s_mov_b64 s[10:11], -1
.LBB9_1917:
	s_mov_b64 s[12:13], 0
.LBB9_1918:
	s_and_b64 vcc, exec, s[12:13]
	s_cbranch_vccz .LBB9_1958
; %bb.1919:
	s_cmp_gt_i32 s17, 22
	s_mov_b64 s[4:5], -1
	s_cbranch_scc0 .LBB9_1951
; %bb.1920:
	s_cmp_lt_i32 s17, 24
	s_cbranch_scc1 .LBB9_1940
; %bb.1921:
	s_cmp_gt_i32 s17, 24
	s_cbranch_scc0 .LBB9_1929
; %bb.1922:
	v_cvt_f32_f64_e32 v2, v[4:5]
	s_mov_b32 s4, 0x47800000
	v_mov_b32_e32 v6, 0x80
	v_and_b32_e32 v3, 0x7fffffff, v2
	v_cmp_gt_u32_e32 vcc, s4, v3
	s_and_saveexec_b64 s[4:5], vcc
	s_cbranch_execz .LBB9_1928
; %bb.1923:
	s_mov_b32 s10, 0x37ffffff
	v_cmp_lt_u32_e32 vcc, s10, v3
	s_mov_b64 s[10:11], 0
                                        ; implicit-def: $vgpr3
	s_and_saveexec_b64 s[12:13], vcc
	s_xor_b64 s[12:13], exec, s[12:13]
	s_cbranch_execz .LBB9_2209
; %bb.1924:
	v_bfe_u32 v3, v2, 21, 1
	s_mov_b32 s14, 0x88fffff
	v_add3_u32 v3, v2, v3, s14
	s_mov_b64 s[10:11], exec
	v_lshrrev_b32_e32 v3, 21, v3
	s_andn2_saveexec_b64 s[12:13], s[12:13]
	s_cbranch_execnz .LBB9_2210
.LBB9_1925:
	s_or_b64 exec, exec, s[12:13]
	v_mov_b32_e32 v6, 0
	s_and_saveexec_b64 s[12:13], s[10:11]
.LBB9_1926:
	v_lshrrev_b32_e32 v2, 24, v2
	s_movk_i32 s10, 0x80
	v_and_or_b32 v6, v2, s10, v3
.LBB9_1927:
	s_or_b64 exec, exec, s[12:13]
.LBB9_1928:
	s_or_b64 exec, exec, s[4:5]
	s_mov_b64 s[4:5], 0
	global_store_byte v[0:1], v6, off
.LBB9_1929:
	s_and_b64 vcc, exec, s[4:5]
	s_cbranch_vccz .LBB9_1939
; %bb.1930:
	v_cvt_f32_f64_e32 v2, v[4:5]
	s_mov_b32 s4, 0x43f00000
                                        ; implicit-def: $vgpr3
	v_and_b32_e32 v6, 0x7fffffff, v2
	v_cmp_gt_u32_e32 vcc, s4, v6
	s_and_saveexec_b64 s[4:5], vcc
	s_xor_b64 s[4:5], exec, s[4:5]
	s_cbranch_execz .LBB9_1936
; %bb.1931:
	s_mov_b32 s10, 0x3c7fffff
	v_cmp_lt_u32_e32 vcc, s10, v6
                                        ; implicit-def: $vgpr3
	s_and_saveexec_b64 s[10:11], vcc
	s_xor_b64 s[10:11], exec, s[10:11]
; %bb.1932:
	v_bfe_u32 v3, v2, 20, 1
	s_mov_b32 s12, 0x407ffff
	v_add3_u32 v3, v2, v3, s12
	v_lshrrev_b32_e32 v6, 20, v3
	v_and_b32_e32 v3, 0xff00000, v3
	s_mov_b32 s12, 0x7f00000
	v_mov_b32_e32 v7, 0x7e
	v_cmp_ne_u32_e32 vcc, s12, v3
	v_cndmask_b32_e32 v3, v7, v6, vcc
; %bb.1933:
	s_andn2_saveexec_b64 s[10:11], s[10:11]
; %bb.1934:
	s_mov_b32 s12, 0x46800000
	v_add_f32_e64 v3, |v2|, s12
; %bb.1935:
	s_or_b64 exec, exec, s[10:11]
                                        ; implicit-def: $vgpr6
.LBB9_1936:
	s_andn2_saveexec_b64 s[4:5], s[4:5]
; %bb.1937:
	s_mov_b32 s10, 0x7f800000
	v_mov_b32_e32 v3, 0x7e
	v_mov_b32_e32 v7, 0x7f
	v_cmp_lt_u32_e32 vcc, s10, v6
	v_cndmask_b32_e32 v3, v3, v7, vcc
; %bb.1938:
	s_or_b64 exec, exec, s[4:5]
	v_lshrrev_b32_e32 v2, 24, v2
	s_movk_i32 s4, 0x80
	v_and_or_b32 v2, v2, s4, v3
	global_store_byte v[0:1], v2, off
.LBB9_1939:
	s_mov_b64 s[4:5], 0
.LBB9_1940:
	s_andn2_b64 vcc, exec, s[4:5]
	s_cbranch_vccnz .LBB9_1950
; %bb.1941:
	v_cvt_f32_f64_e32 v2, v[4:5]
	s_mov_b32 s4, 0x47800000
                                        ; implicit-def: $vgpr3
	v_and_b32_e32 v6, 0x7fffffff, v2
	v_cmp_gt_u32_e32 vcc, s4, v6
	s_and_saveexec_b64 s[4:5], vcc
	s_xor_b64 s[4:5], exec, s[4:5]
	s_cbranch_execz .LBB9_1947
; %bb.1942:
	s_mov_b32 s10, 0x387fffff
	v_cmp_lt_u32_e32 vcc, s10, v6
                                        ; implicit-def: $vgpr3
	s_and_saveexec_b64 s[10:11], vcc
	s_xor_b64 s[10:11], exec, s[10:11]
; %bb.1943:
	v_bfe_u32 v3, v2, 21, 1
	s_mov_b32 s12, 0x80fffff
	v_add3_u32 v3, v2, v3, s12
	v_lshrrev_b32_e32 v3, 21, v3
; %bb.1944:
	s_andn2_saveexec_b64 s[10:11], s[10:11]
; %bb.1945:
	s_mov_b32 s12, 0x43000000
	v_add_f32_e64 v3, |v2|, s12
; %bb.1946:
	s_or_b64 exec, exec, s[10:11]
                                        ; implicit-def: $vgpr6
.LBB9_1947:
	s_andn2_saveexec_b64 s[4:5], s[4:5]
; %bb.1948:
	s_mov_b32 s10, 0x7f800000
	v_mov_b32_e32 v3, 0x7c
	v_mov_b32_e32 v7, 0x7f
	v_cmp_lt_u32_e32 vcc, s10, v6
	v_cndmask_b32_e32 v3, v3, v7, vcc
; %bb.1949:
	s_or_b64 exec, exec, s[4:5]
	v_lshrrev_b32_e32 v2, 24, v2
	s_movk_i32 s4, 0x80
	v_and_or_b32 v2, v2, s4, v3
	global_store_byte v[0:1], v2, off
.LBB9_1950:
	s_mov_b64 s[4:5], 0
	s_mov_b64 s[10:11], -1
.LBB9_1951:
	s_andn2_b64 vcc, exec, s[4:5]
	s_mov_b64 s[4:5], 0
	s_cbranch_vccnz .LBB9_1958
; %bb.1952:
	s_cmp_gt_i32 s17, 14
	s_mov_b64 s[12:13], -1
	s_cbranch_scc0 .LBB9_1956
; %bb.1953:
	s_cmp_eq_u32 s17, 15
	s_mov_b64 s[0:1], -1
	s_cbranch_scc0 .LBB9_1955
; %bb.1954:
	v_cvt_f32_f64_e32 v2, v[4:5]
	s_movk_i32 s0, 0x7fff
	v_mov_b32_e32 v3, 0x7fc0
	s_mov_b64 s[10:11], -1
	v_bfe_u32 v6, v2, 16, 1
	v_cmp_o_f32_e32 vcc, v2, v2
	v_add3_u32 v2, v2, v6, s0
	v_cndmask_b32_sdwa v2, v3, v2, vcc dst_sel:DWORD dst_unused:UNUSED_PAD src0_sel:DWORD src1_sel:WORD_1
	global_store_short v[0:1], v2, off
	s_mov_b64 s[0:1], 0
.LBB9_1955:
	s_mov_b64 s[12:13], 0
.LBB9_1956:
	s_and_b64 vcc, exec, s[12:13]
	s_cbranch_vccz .LBB9_1958
; %bb.1957:
	s_cmp_lg_u32 s17, 11
	s_mov_b64 s[4:5], -1
	s_cselect_b64 s[0:1], -1, 0
.LBB9_1958:
	s_and_b64 vcc, exec, s[0:1]
	s_cbranch_vccnz .LBB9_2208
; %bb.1959:
	s_andn2_b64 vcc, exec, s[4:5]
	s_cbranch_vccnz .LBB9_1961
.LBB9_1960:
	v_cmp_neq_f64_e32 vcc, 0, v[4:5]
	s_mov_b64 s[10:11], -1
	v_cndmask_b32_e64 v2, 0, 1, vcc
	global_store_byte v[0:1], v2, off
.LBB9_1961:
	s_mov_b64 s[0:1], 0
	s_branch .LBB9_1963
.LBB9_1962:
	s_mov_b64 s[0:1], -1
	s_mov_b64 s[10:11], 0
.LBB9_1963:
	s_and_b64 vcc, exec, s[0:1]
	s_cbranch_vccz .LBB9_2002
; %bb.1964:
	s_and_b32 s4, 0xffff, s16
	s_cmp_lt_i32 s4, 5
	s_mov_b64 s[0:1], -1
	s_cbranch_scc1 .LBB9_1985
; %bb.1965:
	s_cmp_lt_i32 s4, 8
	s_cbranch_scc1 .LBB9_1975
; %bb.1966:
	s_cmp_lt_i32 s4, 9
	s_cbranch_scc1 .LBB9_1972
; %bb.1967:
	s_cmp_gt_i32 s4, 9
	s_cbranch_scc0 .LBB9_1969
; %bb.1968:
	v_mov_b32_e32 v6, 0
	v_mov_b32_e32 v7, v6
	global_store_dwordx4 v[0:1], v[4:7], off
	s_mov_b64 s[0:1], 0
.LBB9_1969:
	s_andn2_b64 vcc, exec, s[0:1]
	s_cbranch_vccnz .LBB9_1971
; %bb.1970:
	v_cvt_f32_f64_e32 v2, v[4:5]
	v_mov_b32_e32 v3, 0
	global_store_dwordx2 v[0:1], v[2:3], off
.LBB9_1971:
	s_mov_b64 s[0:1], 0
.LBB9_1972:
	s_andn2_b64 vcc, exec, s[0:1]
	s_cbranch_vccnz .LBB9_1974
; %bb.1973:
	s_movk_i32 s0, 0x1ff
	v_and_or_b32 v2, v5, s0, v4
	v_cmp_ne_u32_e32 vcc, 0, v2
	v_cndmask_b32_e64 v2, 0, 1, vcc
	v_lshrrev_b32_e32 v3, 8, v5
	s_movk_i32 s0, 0xffe
	v_bfe_u32 v6, v5, 20, 11
	v_and_or_b32 v2, v3, s0, v2
	v_sub_u32_e32 v7, 0x3f1, v6
	v_or_b32_e32 v3, 0x1000, v2
	v_med3_i32 v7, v7, 0, 13
	v_lshrrev_b32_e32 v11, v7, v3
	v_lshlrev_b32_e32 v7, v7, v11
	v_cmp_ne_u32_e32 vcc, v7, v3
	v_cndmask_b32_e64 v3, 0, 1, vcc
	v_add_u32_e32 v6, 0xfffffc10, v6
	v_or_b32_e32 v3, v11, v3
	v_lshl_or_b32 v7, v6, 12, v2
	v_cmp_gt_i32_e32 vcc, 1, v6
	v_cndmask_b32_e32 v3, v7, v3, vcc
	v_and_b32_e32 v7, 7, v3
	v_cmp_lt_i32_e32 vcc, 5, v7
	v_cndmask_b32_e64 v11, 0, 1, vcc
	v_cmp_eq_u32_e32 vcc, 3, v7
	v_cndmask_b32_e64 v7, 0, 1, vcc
	v_or_b32_e32 v7, v7, v11
	v_lshrrev_b32_e32 v3, 2, v3
	v_add_u32_e32 v3, v3, v7
	v_mov_b32_e32 v7, 0x7c00
	v_cmp_gt_i32_e32 vcc, 31, v6
	v_cndmask_b32_e32 v3, v7, v3, vcc
	v_mov_b32_e32 v11, 0x7e00
	v_cmp_ne_u32_e32 vcc, 0, v2
	s_movk_i32 s0, 0x40f
	v_cndmask_b32_e32 v2, v7, v11, vcc
	v_cmp_eq_u32_e32 vcc, s0, v6
	v_cndmask_b32_e32 v2, v3, v2, vcc
	v_lshrrev_b32_e32 v3, 16, v5
	s_mov_b32 s0, 0x8000
	v_and_or_b32 v2, v3, s0, v2
	v_and_b32_e32 v2, 0xffff, v2
	global_store_dword v[0:1], v2, off
.LBB9_1974:
	s_mov_b64 s[0:1], 0
.LBB9_1975:
	s_andn2_b64 vcc, exec, s[0:1]
	s_cbranch_vccnz .LBB9_1984
; %bb.1976:
	s_cmp_lt_i32 s4, 6
	s_mov_b64 s[0:1], -1
	s_cbranch_scc1 .LBB9_1982
; %bb.1977:
	s_cmp_gt_i32 s4, 6
	s_cbranch_scc0 .LBB9_1979
; %bb.1978:
	global_store_dwordx2 v[0:1], v[4:5], off
	s_mov_b64 s[0:1], 0
.LBB9_1979:
	s_andn2_b64 vcc, exec, s[0:1]
	s_cbranch_vccnz .LBB9_1981
; %bb.1980:
	v_cvt_f32_f64_e32 v2, v[4:5]
	global_store_dword v[0:1], v2, off
.LBB9_1981:
	s_mov_b64 s[0:1], 0
.LBB9_1982:
	s_andn2_b64 vcc, exec, s[0:1]
	s_cbranch_vccnz .LBB9_1984
; %bb.1983:
	s_movk_i32 s0, 0x1ff
	v_and_or_b32 v2, v5, s0, v4
	v_cmp_ne_u32_e32 vcc, 0, v2
	v_cndmask_b32_e64 v2, 0, 1, vcc
	v_lshrrev_b32_e32 v3, 8, v5
	s_movk_i32 s0, 0xffe
	v_bfe_u32 v6, v5, 20, 11
	v_and_or_b32 v2, v3, s0, v2
	v_sub_u32_e32 v7, 0x3f1, v6
	v_or_b32_e32 v3, 0x1000, v2
	v_med3_i32 v7, v7, 0, 13
	v_lshrrev_b32_e32 v11, v7, v3
	v_lshlrev_b32_e32 v7, v7, v11
	v_cmp_ne_u32_e32 vcc, v7, v3
	v_cndmask_b32_e64 v3, 0, 1, vcc
	v_add_u32_e32 v6, 0xfffffc10, v6
	v_or_b32_e32 v3, v11, v3
	v_lshl_or_b32 v7, v6, 12, v2
	v_cmp_gt_i32_e32 vcc, 1, v6
	v_cndmask_b32_e32 v3, v7, v3, vcc
	v_and_b32_e32 v7, 7, v3
	v_cmp_lt_i32_e32 vcc, 5, v7
	v_cndmask_b32_e64 v11, 0, 1, vcc
	v_cmp_eq_u32_e32 vcc, 3, v7
	v_cndmask_b32_e64 v7, 0, 1, vcc
	v_or_b32_e32 v7, v7, v11
	v_lshrrev_b32_e32 v3, 2, v3
	v_add_u32_e32 v3, v3, v7
	v_mov_b32_e32 v7, 0x7c00
	v_cmp_gt_i32_e32 vcc, 31, v6
	v_cndmask_b32_e32 v3, v7, v3, vcc
	v_mov_b32_e32 v11, 0x7e00
	v_cmp_ne_u32_e32 vcc, 0, v2
	s_movk_i32 s0, 0x40f
	v_cndmask_b32_e32 v2, v7, v11, vcc
	v_cmp_eq_u32_e32 vcc, s0, v6
	v_cndmask_b32_e32 v2, v3, v2, vcc
	v_lshrrev_b32_e32 v3, 16, v5
	s_mov_b32 s0, 0x8000
	v_and_or_b32 v2, v3, s0, v2
	global_store_short v[0:1], v2, off
.LBB9_1984:
	s_mov_b64 s[0:1], 0
.LBB9_1985:
	s_andn2_b64 vcc, exec, s[0:1]
	s_cbranch_vccnz .LBB9_2001
; %bb.1986:
	s_cmp_lt_i32 s4, 2
	s_mov_b64 s[0:1], -1
	s_cbranch_scc1 .LBB9_1996
; %bb.1987:
	s_cmp_lt_i32 s4, 3
	s_cbranch_scc1 .LBB9_1993
; %bb.1988:
	s_cmp_gt_i32 s4, 3
	s_cbranch_scc0 .LBB9_1990
; %bb.1989:
	v_trunc_f64_e32 v[2:3], v[4:5]
	s_movk_i32 s0, 0xffe0
	v_ldexp_f64 v[6:7], v[2:3], s0
	s_mov_b32 s0, 0
	s_mov_b32 s1, 0xc1f00000
	v_floor_f64_e32 v[6:7], v[6:7]
	v_fma_f64 v[2:3], v[6:7], s[0:1], v[2:3]
	v_cvt_i32_f64_e32 v7, v[6:7]
	s_mov_b64 s[0:1], 0
	v_cvt_u32_f64_e32 v6, v[2:3]
	global_store_dwordx2 v[0:1], v[6:7], off
.LBB9_1990:
	s_andn2_b64 vcc, exec, s[0:1]
	s_cbranch_vccnz .LBB9_1992
; %bb.1991:
	v_cvt_i32_f64_e32 v2, v[4:5]
	global_store_dword v[0:1], v2, off
.LBB9_1992:
	s_mov_b64 s[0:1], 0
.LBB9_1993:
	s_andn2_b64 vcc, exec, s[0:1]
	s_cbranch_vccnz .LBB9_1995
; %bb.1994:
	v_cvt_i32_f64_e32 v2, v[4:5]
	global_store_short v[0:1], v2, off
.LBB9_1995:
	s_mov_b64 s[0:1], 0
.LBB9_1996:
	s_andn2_b64 vcc, exec, s[0:1]
	s_cbranch_vccnz .LBB9_2001
; %bb.1997:
	s_cmp_gt_i32 s4, 0
	s_mov_b64 s[0:1], -1
	s_cbranch_scc0 .LBB9_1999
; %bb.1998:
	v_cvt_i32_f64_e32 v2, v[4:5]
	s_mov_b64 s[0:1], 0
	global_store_byte v[0:1], v2, off
.LBB9_1999:
	s_andn2_b64 vcc, exec, s[0:1]
	s_cbranch_vccnz .LBB9_2001
; %bb.2000:
	v_trunc_f64_e32 v[2:3], v[4:5]
	s_movk_i32 s0, 0xffe0
	v_ldexp_f64 v[4:5], v[2:3], s0
	s_mov_b32 s0, 0
	s_mov_b32 s1, 0xc1f00000
	v_floor_f64_e32 v[4:5], v[4:5]
	v_fma_f64 v[2:3], v[4:5], s[0:1], v[2:3]
	v_cvt_u32_f64_e32 v2, v[2:3]
	global_store_byte v[0:1], v2, off
.LBB9_2001:
	s_mov_b64 s[10:11], -1
.LBB9_2002:
	s_andn2_b64 vcc, exec, s[10:11]
	s_cbranch_vccnz .LBB9_2198
; %bb.2003:
	v_mov_b32_e32 v1, s9
	v_add_co_u32_e32 v0, vcc, s8, v10
	s_cmp_lt_i32 s16, 11
	v_addc_co_u32_e32 v1, vcc, 0, v1, vcc
	s_cbranch_scc1 .LBB9_2081
; %bb.2004:
	s_and_b32 s17, 0xffff, s16
	s_mov_b64 s[12:13], -1
	s_mov_b64 s[4:5], 0
	s_cmp_gt_i32 s17, 25
	s_mov_b64 s[10:11], 0
	s_mov_b64 s[0:1], 0
	s_cbranch_scc0 .LBB9_2037
; %bb.2005:
	s_cmp_gt_i32 s17, 28
	s_cbranch_scc0 .LBB9_2020
; %bb.2006:
	s_cmp_gt_i32 s17, 43
	s_cbranch_scc0 .LBB9_2016
; %bb.2007:
	s_cmp_gt_i32 s17, 45
	s_cbranch_scc0 .LBB9_2010
; %bb.2008:
	s_mov_b64 s[0:1], -1
	s_mov_b64 s[12:13], 0
	s_cmp_eq_u32 s17, 46
	s_cbranch_scc0 .LBB9_2010
; %bb.2009:
	v_cvt_f32_f64_e32 v2, v[8:9]
	s_movk_i32 s0, 0x7fff
	v_mov_b32_e32 v3, 0x7fc0
	s_mov_b64 s[10:11], -1
	v_bfe_u32 v4, v2, 16, 1
	v_cmp_o_f32_e32 vcc, v2, v2
	v_add3_u32 v2, v2, v4, s0
	v_cndmask_b32_sdwa v2, v3, v2, vcc dst_sel:DWORD dst_unused:UNUSED_PAD src0_sel:DWORD src1_sel:WORD_1
	global_store_dword v[0:1], v2, off
	s_mov_b64 s[0:1], 0
.LBB9_2010:
	s_and_b64 vcc, exec, s[12:13]
	s_cbranch_vccz .LBB9_2015
; %bb.2011:
	s_cmp_eq_u32 s17, 44
	s_mov_b64 s[0:1], -1
	s_cbranch_scc0 .LBB9_2015
; %bb.2012:
	v_cvt_f32_f64_e32 v2, v[8:9]
	s_movk_i32 s0, 0xff
	v_mov_b32_e32 v4, 0xff
	v_bfe_u32 v3, v2, 23, 8
	v_cmp_ne_u32_e32 vcc, s0, v3
	s_and_saveexec_b64 s[10:11], vcc
; %bb.2013:
	s_mov_b32 s0, 0x3fffff
	v_lshrrev_b32_e32 v4, 23, v2
	v_and_b32_e32 v5, 0x400000, v2
	v_and_or_b32 v2, v2, s0, v3
	v_cmp_ne_u32_e32 vcc, 0, v5
	v_cmp_ne_u32_e64 s[0:1], 0, v2
	s_and_b64 s[0:1], vcc, s[0:1]
	v_cndmask_b32_e64 v2, 0, 1, s[0:1]
	v_add_u32_e32 v4, v4, v2
; %bb.2014:
	s_or_b64 exec, exec, s[10:11]
	s_mov_b64 s[0:1], 0
	s_mov_b64 s[10:11], -1
	global_store_byte v[0:1], v4, off
.LBB9_2015:
	s_mov_b64 s[12:13], 0
.LBB9_2016:
	s_and_b64 vcc, exec, s[12:13]
	s_cbranch_vccz .LBB9_2019
; %bb.2017:
	s_cmp_eq_u32 s17, 29
	s_mov_b64 s[0:1], -1
	s_cbranch_scc0 .LBB9_2019
; %bb.2018:
	v_trunc_f64_e32 v[2:3], v[8:9]
	s_movk_i32 s0, 0xffe0
	s_mov_b64 s[10:11], -1
	v_ldexp_f64 v[4:5], v[2:3], s0
	s_mov_b32 s0, 0
	s_mov_b32 s1, 0xc1f00000
	v_floor_f64_e32 v[4:5], v[4:5]
	v_fma_f64 v[2:3], v[4:5], s[0:1], v[2:3]
	v_cvt_u32_f64_e32 v4, v[4:5]
	s_mov_b64 s[0:1], 0
	v_cvt_u32_f64_e32 v3, v[2:3]
	global_store_dwordx2 v[0:1], v[3:4], off
.LBB9_2019:
	s_mov_b64 s[12:13], 0
.LBB9_2020:
	s_and_b64 vcc, exec, s[12:13]
	s_cbranch_vccz .LBB9_2036
; %bb.2021:
	s_cmp_lt_i32 s17, 27
	s_mov_b64 s[10:11], -1
	s_cbranch_scc1 .LBB9_2027
; %bb.2022:
	v_cvt_u32_f64_e32 v2, v[8:9]
	s_cmp_gt_i32 s17, 27
	s_cbranch_scc0 .LBB9_2024
; %bb.2023:
	s_mov_b64 s[10:11], 0
	global_store_dword v[0:1], v2, off
.LBB9_2024:
	s_andn2_b64 vcc, exec, s[10:11]
	s_cbranch_vccnz .LBB9_2026
; %bb.2025:
	global_store_short v[0:1], v2, off
.LBB9_2026:
	s_mov_b64 s[10:11], 0
.LBB9_2027:
	s_andn2_b64 vcc, exec, s[10:11]
	s_cbranch_vccnz .LBB9_2035
; %bb.2028:
	v_cvt_f32_f64_e32 v2, v[8:9]
	s_mov_b32 s10, 0x43800000
	v_mov_b32_e32 v4, 0x80
	v_and_b32_e32 v3, 0x7fffffff, v2
	v_cmp_gt_u32_e32 vcc, s10, v3
	s_and_saveexec_b64 s[10:11], vcc
	s_cbranch_execz .LBB9_2034
; %bb.2029:
	s_mov_b32 s12, 0x3bffffff
	v_cmp_lt_u32_e32 vcc, s12, v3
	s_mov_b64 s[12:13], 0
                                        ; implicit-def: $vgpr3
	s_and_saveexec_b64 s[14:15], vcc
	s_xor_b64 s[14:15], exec, s[14:15]
	s_cbranch_execz .LBB9_2211
; %bb.2030:
	v_bfe_u32 v3, v2, 20, 1
	s_mov_b32 s18, 0x487ffff
	v_add3_u32 v3, v2, v3, s18
	s_mov_b64 s[12:13], exec
	v_lshrrev_b32_e32 v3, 20, v3
	s_andn2_saveexec_b64 s[14:15], s[14:15]
	s_cbranch_execnz .LBB9_2212
.LBB9_2031:
	s_or_b64 exec, exec, s[14:15]
	v_mov_b32_e32 v4, 0
	s_and_saveexec_b64 s[14:15], s[12:13]
.LBB9_2032:
	v_lshrrev_b32_e32 v2, 24, v2
	s_movk_i32 s12, 0x80
	v_and_or_b32 v4, v2, s12, v3
.LBB9_2033:
	s_or_b64 exec, exec, s[14:15]
.LBB9_2034:
	s_or_b64 exec, exec, s[10:11]
	global_store_byte v[0:1], v4, off
.LBB9_2035:
	s_mov_b64 s[10:11], -1
.LBB9_2036:
	s_mov_b64 s[12:13], 0
.LBB9_2037:
	s_and_b64 vcc, exec, s[12:13]
	s_cbranch_vccz .LBB9_2077
; %bb.2038:
	s_cmp_gt_i32 s17, 22
	s_mov_b64 s[4:5], -1
	s_cbranch_scc0 .LBB9_2070
; %bb.2039:
	s_cmp_lt_i32 s17, 24
	s_cbranch_scc1 .LBB9_2059
; %bb.2040:
	s_cmp_gt_i32 s17, 24
	s_cbranch_scc0 .LBB9_2048
; %bb.2041:
	v_cvt_f32_f64_e32 v2, v[8:9]
	s_mov_b32 s4, 0x47800000
	v_mov_b32_e32 v4, 0x80
	v_and_b32_e32 v3, 0x7fffffff, v2
	v_cmp_gt_u32_e32 vcc, s4, v3
	s_and_saveexec_b64 s[4:5], vcc
	s_cbranch_execz .LBB9_2047
; %bb.2042:
	s_mov_b32 s10, 0x37ffffff
	v_cmp_lt_u32_e32 vcc, s10, v3
	s_mov_b64 s[10:11], 0
                                        ; implicit-def: $vgpr3
	s_and_saveexec_b64 s[12:13], vcc
	s_xor_b64 s[12:13], exec, s[12:13]
	s_cbranch_execz .LBB9_2214
; %bb.2043:
	v_bfe_u32 v3, v2, 21, 1
	s_mov_b32 s14, 0x88fffff
	v_add3_u32 v3, v2, v3, s14
	s_mov_b64 s[10:11], exec
	v_lshrrev_b32_e32 v3, 21, v3
	s_andn2_saveexec_b64 s[12:13], s[12:13]
	s_cbranch_execnz .LBB9_2215
.LBB9_2044:
	s_or_b64 exec, exec, s[12:13]
	v_mov_b32_e32 v4, 0
	s_and_saveexec_b64 s[12:13], s[10:11]
.LBB9_2045:
	v_lshrrev_b32_e32 v2, 24, v2
	s_movk_i32 s10, 0x80
	v_and_or_b32 v4, v2, s10, v3
.LBB9_2046:
	s_or_b64 exec, exec, s[12:13]
.LBB9_2047:
	s_or_b64 exec, exec, s[4:5]
	s_mov_b64 s[4:5], 0
	global_store_byte v[0:1], v4, off
.LBB9_2048:
	s_and_b64 vcc, exec, s[4:5]
	s_cbranch_vccz .LBB9_2058
; %bb.2049:
	v_cvt_f32_f64_e32 v2, v[8:9]
	s_mov_b32 s4, 0x43f00000
                                        ; implicit-def: $vgpr3
	v_and_b32_e32 v4, 0x7fffffff, v2
	v_cmp_gt_u32_e32 vcc, s4, v4
	s_and_saveexec_b64 s[4:5], vcc
	s_xor_b64 s[4:5], exec, s[4:5]
	s_cbranch_execz .LBB9_2055
; %bb.2050:
	s_mov_b32 s10, 0x3c7fffff
	v_cmp_lt_u32_e32 vcc, s10, v4
                                        ; implicit-def: $vgpr3
	s_and_saveexec_b64 s[10:11], vcc
	s_xor_b64 s[10:11], exec, s[10:11]
; %bb.2051:
	v_bfe_u32 v3, v2, 20, 1
	s_mov_b32 s12, 0x407ffff
	v_add3_u32 v3, v2, v3, s12
	v_lshrrev_b32_e32 v4, 20, v3
	v_and_b32_e32 v3, 0xff00000, v3
	s_mov_b32 s12, 0x7f00000
	v_mov_b32_e32 v5, 0x7e
	v_cmp_ne_u32_e32 vcc, s12, v3
	v_cndmask_b32_e32 v3, v5, v4, vcc
; %bb.2052:
	s_andn2_saveexec_b64 s[10:11], s[10:11]
; %bb.2053:
	s_mov_b32 s12, 0x46800000
	v_add_f32_e64 v3, |v2|, s12
; %bb.2054:
	s_or_b64 exec, exec, s[10:11]
                                        ; implicit-def: $vgpr4
.LBB9_2055:
	s_andn2_saveexec_b64 s[4:5], s[4:5]
; %bb.2056:
	s_mov_b32 s10, 0x7f800000
	v_mov_b32_e32 v3, 0x7e
	v_mov_b32_e32 v5, 0x7f
	v_cmp_lt_u32_e32 vcc, s10, v4
	v_cndmask_b32_e32 v3, v3, v5, vcc
; %bb.2057:
	s_or_b64 exec, exec, s[4:5]
	v_lshrrev_b32_e32 v2, 24, v2
	s_movk_i32 s4, 0x80
	v_and_or_b32 v2, v2, s4, v3
	global_store_byte v[0:1], v2, off
.LBB9_2058:
	s_mov_b64 s[4:5], 0
.LBB9_2059:
	s_andn2_b64 vcc, exec, s[4:5]
	s_cbranch_vccnz .LBB9_2069
; %bb.2060:
	v_cvt_f32_f64_e32 v2, v[8:9]
	s_mov_b32 s4, 0x47800000
                                        ; implicit-def: $vgpr3
	v_and_b32_e32 v4, 0x7fffffff, v2
	v_cmp_gt_u32_e32 vcc, s4, v4
	s_and_saveexec_b64 s[4:5], vcc
	s_xor_b64 s[4:5], exec, s[4:5]
	s_cbranch_execz .LBB9_2066
; %bb.2061:
	s_mov_b32 s10, 0x387fffff
	v_cmp_lt_u32_e32 vcc, s10, v4
                                        ; implicit-def: $vgpr3
	s_and_saveexec_b64 s[10:11], vcc
	s_xor_b64 s[10:11], exec, s[10:11]
; %bb.2062:
	v_bfe_u32 v3, v2, 21, 1
	s_mov_b32 s12, 0x80fffff
	v_add3_u32 v3, v2, v3, s12
	v_lshrrev_b32_e32 v3, 21, v3
; %bb.2063:
	s_andn2_saveexec_b64 s[10:11], s[10:11]
; %bb.2064:
	s_mov_b32 s12, 0x43000000
	v_add_f32_e64 v3, |v2|, s12
; %bb.2065:
	s_or_b64 exec, exec, s[10:11]
                                        ; implicit-def: $vgpr4
.LBB9_2066:
	s_andn2_saveexec_b64 s[4:5], s[4:5]
; %bb.2067:
	s_mov_b32 s10, 0x7f800000
	v_mov_b32_e32 v3, 0x7c
	v_mov_b32_e32 v5, 0x7f
	v_cmp_lt_u32_e32 vcc, s10, v4
	v_cndmask_b32_e32 v3, v3, v5, vcc
; %bb.2068:
	s_or_b64 exec, exec, s[4:5]
	v_lshrrev_b32_e32 v2, 24, v2
	s_movk_i32 s4, 0x80
	v_and_or_b32 v2, v2, s4, v3
	global_store_byte v[0:1], v2, off
.LBB9_2069:
	s_mov_b64 s[4:5], 0
	s_mov_b64 s[10:11], -1
.LBB9_2070:
	s_andn2_b64 vcc, exec, s[4:5]
	s_mov_b64 s[4:5], 0
	s_cbranch_vccnz .LBB9_2077
; %bb.2071:
	s_cmp_gt_i32 s17, 14
	s_mov_b64 s[12:13], -1
	s_cbranch_scc0 .LBB9_2075
; %bb.2072:
	s_cmp_eq_u32 s17, 15
	s_mov_b64 s[0:1], -1
	s_cbranch_scc0 .LBB9_2074
; %bb.2073:
	v_cvt_f32_f64_e32 v2, v[8:9]
	s_movk_i32 s0, 0x7fff
	v_mov_b32_e32 v3, 0x7fc0
	s_mov_b64 s[10:11], -1
	v_bfe_u32 v4, v2, 16, 1
	v_cmp_o_f32_e32 vcc, v2, v2
	v_add3_u32 v2, v2, v4, s0
	v_cndmask_b32_sdwa v2, v3, v2, vcc dst_sel:DWORD dst_unused:UNUSED_PAD src0_sel:DWORD src1_sel:WORD_1
	global_store_short v[0:1], v2, off
	s_mov_b64 s[0:1], 0
.LBB9_2074:
	s_mov_b64 s[12:13], 0
.LBB9_2075:
	s_and_b64 vcc, exec, s[12:13]
	s_cbranch_vccz .LBB9_2077
; %bb.2076:
	s_cmp_lg_u32 s17, 11
	s_mov_b64 s[4:5], -1
	s_cselect_b64 s[0:1], -1, 0
.LBB9_2077:
	s_and_b64 vcc, exec, s[0:1]
	s_cbranch_vccnz .LBB9_2213
; %bb.2078:
	s_andn2_b64 vcc, exec, s[4:5]
	s_cbranch_vccnz .LBB9_2080
.LBB9_2079:
	v_cmp_neq_f64_e32 vcc, 0, v[8:9]
	s_mov_b64 s[10:11], -1
	v_cndmask_b32_e64 v2, 0, 1, vcc
	global_store_byte v[0:1], v2, off
.LBB9_2080:
	s_mov_b64 s[0:1], 0
	s_branch .LBB9_2082
.LBB9_2081:
	s_mov_b64 s[0:1], -1
	s_mov_b64 s[10:11], 0
.LBB9_2082:
	s_and_b64 vcc, exec, s[0:1]
	s_cbranch_vccz .LBB9_2121
; %bb.2083:
	s_and_b32 s4, 0xffff, s16
	s_cmp_lt_i32 s4, 5
	s_mov_b64 s[0:1], -1
	s_cbranch_scc1 .LBB9_2104
; %bb.2084:
	s_cmp_lt_i32 s4, 8
	s_cbranch_scc1 .LBB9_2094
; %bb.2085:
	s_cmp_lt_i32 s4, 9
	s_cbranch_scc1 .LBB9_2091
; %bb.2086:
	s_cmp_gt_i32 s4, 9
	s_cbranch_scc0 .LBB9_2088
; %bb.2087:
	v_mov_b32_e32 v10, 0
	v_mov_b32_e32 v11, v10
	global_store_dwordx4 v[0:1], v[8:11], off
	s_mov_b64 s[0:1], 0
.LBB9_2088:
	s_andn2_b64 vcc, exec, s[0:1]
	s_cbranch_vccnz .LBB9_2090
; %bb.2089:
	v_cvt_f32_f64_e32 v2, v[8:9]
	v_mov_b32_e32 v3, 0
	global_store_dwordx2 v[0:1], v[2:3], off
.LBB9_2090:
	s_mov_b64 s[0:1], 0
.LBB9_2091:
	s_andn2_b64 vcc, exec, s[0:1]
	s_cbranch_vccnz .LBB9_2093
; %bb.2092:
	s_movk_i32 s0, 0x1ff
	v_and_or_b32 v2, v9, s0, v8
	v_cmp_ne_u32_e32 vcc, 0, v2
	v_cndmask_b32_e64 v2, 0, 1, vcc
	v_lshrrev_b32_e32 v3, 8, v9
	s_movk_i32 s0, 0xffe
	v_bfe_u32 v4, v9, 20, 11
	v_and_or_b32 v2, v3, s0, v2
	v_sub_u32_e32 v5, 0x3f1, v4
	v_or_b32_e32 v3, 0x1000, v2
	v_med3_i32 v5, v5, 0, 13
	v_lshrrev_b32_e32 v6, v5, v3
	v_lshlrev_b32_e32 v5, v5, v6
	v_cmp_ne_u32_e32 vcc, v5, v3
	v_cndmask_b32_e64 v3, 0, 1, vcc
	v_add_u32_e32 v4, 0xfffffc10, v4
	v_or_b32_e32 v3, v6, v3
	v_lshl_or_b32 v5, v4, 12, v2
	v_cmp_gt_i32_e32 vcc, 1, v4
	v_cndmask_b32_e32 v3, v5, v3, vcc
	v_and_b32_e32 v5, 7, v3
	v_cmp_lt_i32_e32 vcc, 5, v5
	v_cndmask_b32_e64 v6, 0, 1, vcc
	v_cmp_eq_u32_e32 vcc, 3, v5
	v_cndmask_b32_e64 v5, 0, 1, vcc
	v_or_b32_e32 v5, v5, v6
	v_lshrrev_b32_e32 v3, 2, v3
	v_add_u32_e32 v3, v3, v5
	v_mov_b32_e32 v5, 0x7c00
	v_cmp_gt_i32_e32 vcc, 31, v4
	v_cndmask_b32_e32 v3, v5, v3, vcc
	v_mov_b32_e32 v6, 0x7e00
	v_cmp_ne_u32_e32 vcc, 0, v2
	s_movk_i32 s0, 0x40f
	v_cndmask_b32_e32 v2, v5, v6, vcc
	v_cmp_eq_u32_e32 vcc, s0, v4
	v_cndmask_b32_e32 v2, v3, v2, vcc
	v_lshrrev_b32_e32 v3, 16, v9
	s_mov_b32 s0, 0x8000
	v_and_or_b32 v2, v3, s0, v2
	v_and_b32_e32 v2, 0xffff, v2
	global_store_dword v[0:1], v2, off
.LBB9_2093:
	s_mov_b64 s[0:1], 0
.LBB9_2094:
	s_andn2_b64 vcc, exec, s[0:1]
	s_cbranch_vccnz .LBB9_2103
; %bb.2095:
	s_cmp_lt_i32 s4, 6
	s_mov_b64 s[0:1], -1
	s_cbranch_scc1 .LBB9_2101
; %bb.2096:
	s_cmp_gt_i32 s4, 6
	s_cbranch_scc0 .LBB9_2098
; %bb.2097:
	global_store_dwordx2 v[0:1], v[8:9], off
	s_mov_b64 s[0:1], 0
.LBB9_2098:
	s_andn2_b64 vcc, exec, s[0:1]
	s_cbranch_vccnz .LBB9_2100
; %bb.2099:
	v_cvt_f32_f64_e32 v2, v[8:9]
	global_store_dword v[0:1], v2, off
.LBB9_2100:
	s_mov_b64 s[0:1], 0
.LBB9_2101:
	s_andn2_b64 vcc, exec, s[0:1]
	s_cbranch_vccnz .LBB9_2103
; %bb.2102:
	s_movk_i32 s0, 0x1ff
	v_and_or_b32 v2, v9, s0, v8
	v_cmp_ne_u32_e32 vcc, 0, v2
	v_cndmask_b32_e64 v2, 0, 1, vcc
	v_lshrrev_b32_e32 v3, 8, v9
	s_movk_i32 s0, 0xffe
	v_bfe_u32 v4, v9, 20, 11
	v_and_or_b32 v2, v3, s0, v2
	v_sub_u32_e32 v5, 0x3f1, v4
	v_or_b32_e32 v3, 0x1000, v2
	v_med3_i32 v5, v5, 0, 13
	v_lshrrev_b32_e32 v6, v5, v3
	v_lshlrev_b32_e32 v5, v5, v6
	v_cmp_ne_u32_e32 vcc, v5, v3
	v_cndmask_b32_e64 v3, 0, 1, vcc
	v_add_u32_e32 v4, 0xfffffc10, v4
	v_or_b32_e32 v3, v6, v3
	v_lshl_or_b32 v5, v4, 12, v2
	v_cmp_gt_i32_e32 vcc, 1, v4
	v_cndmask_b32_e32 v3, v5, v3, vcc
	v_and_b32_e32 v5, 7, v3
	v_cmp_lt_i32_e32 vcc, 5, v5
	v_cndmask_b32_e64 v6, 0, 1, vcc
	v_cmp_eq_u32_e32 vcc, 3, v5
	v_cndmask_b32_e64 v5, 0, 1, vcc
	v_or_b32_e32 v5, v5, v6
	v_lshrrev_b32_e32 v3, 2, v3
	v_add_u32_e32 v3, v3, v5
	v_mov_b32_e32 v5, 0x7c00
	v_cmp_gt_i32_e32 vcc, 31, v4
	v_cndmask_b32_e32 v3, v5, v3, vcc
	v_mov_b32_e32 v6, 0x7e00
	v_cmp_ne_u32_e32 vcc, 0, v2
	s_movk_i32 s0, 0x40f
	v_cndmask_b32_e32 v2, v5, v6, vcc
	v_cmp_eq_u32_e32 vcc, s0, v4
	v_cndmask_b32_e32 v2, v3, v2, vcc
	v_lshrrev_b32_e32 v3, 16, v9
	s_mov_b32 s0, 0x8000
	v_and_or_b32 v2, v3, s0, v2
	global_store_short v[0:1], v2, off
.LBB9_2103:
	s_mov_b64 s[0:1], 0
.LBB9_2104:
	s_andn2_b64 vcc, exec, s[0:1]
	s_cbranch_vccnz .LBB9_2120
; %bb.2105:
	s_cmp_lt_i32 s4, 2
	s_mov_b64 s[0:1], -1
	s_cbranch_scc1 .LBB9_2115
; %bb.2106:
	s_cmp_lt_i32 s4, 3
	s_cbranch_scc1 .LBB9_2112
; %bb.2107:
	s_cmp_gt_i32 s4, 3
	s_cbranch_scc0 .LBB9_2109
; %bb.2108:
	v_trunc_f64_e32 v[2:3], v[8:9]
	s_movk_i32 s0, 0xffe0
	v_ldexp_f64 v[4:5], v[2:3], s0
	s_mov_b32 s0, 0
	s_mov_b32 s1, 0xc1f00000
	v_floor_f64_e32 v[4:5], v[4:5]
	v_fma_f64 v[2:3], v[4:5], s[0:1], v[2:3]
	v_cvt_i32_f64_e32 v4, v[4:5]
	s_mov_b64 s[0:1], 0
	v_cvt_u32_f64_e32 v3, v[2:3]
	global_store_dwordx2 v[0:1], v[3:4], off
.LBB9_2109:
	s_andn2_b64 vcc, exec, s[0:1]
	s_cbranch_vccnz .LBB9_2111
; %bb.2110:
	v_cvt_i32_f64_e32 v2, v[8:9]
	global_store_dword v[0:1], v2, off
.LBB9_2111:
	s_mov_b64 s[0:1], 0
.LBB9_2112:
	s_andn2_b64 vcc, exec, s[0:1]
	s_cbranch_vccnz .LBB9_2114
; %bb.2113:
	v_cvt_i32_f64_e32 v2, v[8:9]
	global_store_short v[0:1], v2, off
.LBB9_2114:
	s_mov_b64 s[0:1], 0
.LBB9_2115:
	s_andn2_b64 vcc, exec, s[0:1]
	s_cbranch_vccnz .LBB9_2120
; %bb.2116:
	s_cmp_gt_i32 s4, 0
	s_mov_b64 s[0:1], -1
	s_cbranch_scc0 .LBB9_2118
; %bb.2117:
	v_cvt_i32_f64_e32 v2, v[8:9]
	s_mov_b64 s[0:1], 0
	global_store_byte v[0:1], v2, off
.LBB9_2118:
	s_andn2_b64 vcc, exec, s[0:1]
	s_cbranch_vccnz .LBB9_2120
; %bb.2119:
	v_trunc_f64_e32 v[2:3], v[8:9]
	s_movk_i32 s0, 0xffe0
	v_ldexp_f64 v[4:5], v[2:3], s0
	s_mov_b32 s0, 0
	s_mov_b32 s1, 0xc1f00000
	v_floor_f64_e32 v[4:5], v[4:5]
	v_fma_f64 v[2:3], v[4:5], s[0:1], v[2:3]
	v_cvt_u32_f64_e32 v2, v[2:3]
	global_store_byte v[0:1], v2, off
.LBB9_2120:
	s_mov_b64 s[10:11], -1
.LBB9_2121:
	s_andn2_b64 vcc, exec, s[10:11]
	s_cbranch_vccnz .LBB9_2198
; %bb.2122:
	v_mov_b32_e32 v1, s9
	v_add_co_u32_e32 v0, vcc, s8, v14
	s_cmp_lt_i32 s16, 11
	v_addc_co_u32_e32 v1, vcc, 0, v1, vcc
	s_cbranch_scc1 .LBB9_2199
; %bb.2123:
	s_and_b32 s14, 0xffff, s16
	s_mov_b64 s[8:9], -1
	s_mov_b64 s[4:5], 0
	s_cmp_gt_i32 s14, 25
	s_mov_b64 s[0:1], 0
	s_cbranch_scc0 .LBB9_2156
; %bb.2124:
	s_cmp_gt_i32 s14, 28
	s_cbranch_scc0 .LBB9_2140
; %bb.2125:
	s_cmp_gt_i32 s14, 43
	;; [unrolled: 3-line block ×3, first 2 shown]
	s_cbranch_scc0 .LBB9_2130
; %bb.2127:
	s_cmp_eq_u32 s14, 46
	s_mov_b64 s[0:1], -1
	s_cbranch_scc0 .LBB9_2129
; %bb.2128:
	v_cvt_f32_f64_e32 v2, v[12:13]
	s_movk_i32 s0, 0x7fff
	v_mov_b32_e32 v3, 0x7fc0
	v_bfe_u32 v4, v2, 16, 1
	v_cmp_o_f32_e32 vcc, v2, v2
	v_add3_u32 v2, v2, v4, s0
	v_cndmask_b32_sdwa v2, v3, v2, vcc dst_sel:DWORD dst_unused:UNUSED_PAD src0_sel:DWORD src1_sel:WORD_1
	global_store_dword v[0:1], v2, off
	s_mov_b64 s[0:1], 0
.LBB9_2129:
	s_mov_b64 s[8:9], 0
.LBB9_2130:
	s_and_b64 vcc, exec, s[8:9]
	s_cbranch_vccz .LBB9_2135
; %bb.2131:
	s_cmp_eq_u32 s14, 44
	s_mov_b64 s[0:1], -1
	s_cbranch_scc0 .LBB9_2135
; %bb.2132:
	v_cvt_f32_f64_e32 v2, v[12:13]
	s_movk_i32 s0, 0xff
	v_mov_b32_e32 v4, 0xff
	v_bfe_u32 v3, v2, 23, 8
	v_cmp_ne_u32_e32 vcc, s0, v3
	s_and_saveexec_b64 s[8:9], vcc
; %bb.2133:
	s_mov_b32 s0, 0x3fffff
	v_lshrrev_b32_e32 v4, 23, v2
	v_and_b32_e32 v5, 0x400000, v2
	v_and_or_b32 v2, v2, s0, v3
	v_cmp_ne_u32_e32 vcc, 0, v5
	v_cmp_ne_u32_e64 s[0:1], 0, v2
	s_and_b64 s[0:1], vcc, s[0:1]
	v_cndmask_b32_e64 v2, 0, 1, s[0:1]
	v_add_u32_e32 v4, v4, v2
; %bb.2134:
	s_or_b64 exec, exec, s[8:9]
	s_mov_b64 s[0:1], 0
	global_store_byte v[0:1], v4, off
.LBB9_2135:
	s_mov_b64 s[8:9], 0
.LBB9_2136:
	s_and_b64 vcc, exec, s[8:9]
	s_cbranch_vccz .LBB9_2139
; %bb.2137:
	s_cmp_eq_u32 s14, 29
	s_mov_b64 s[0:1], -1
	s_cbranch_scc0 .LBB9_2139
; %bb.2138:
	v_trunc_f64_e32 v[2:3], v[12:13]
	s_movk_i32 s0, 0xffe0
	v_ldexp_f64 v[4:5], v[2:3], s0
	s_mov_b32 s0, 0
	s_mov_b32 s1, 0xc1f00000
	v_floor_f64_e32 v[4:5], v[4:5]
	v_fma_f64 v[2:3], v[4:5], s[0:1], v[2:3]
	v_cvt_u32_f64_e32 v4, v[4:5]
	s_mov_b64 s[0:1], 0
	v_cvt_u32_f64_e32 v3, v[2:3]
	global_store_dwordx2 v[0:1], v[3:4], off
.LBB9_2139:
	s_mov_b64 s[8:9], 0
.LBB9_2140:
	s_and_b64 vcc, exec, s[8:9]
	s_cbranch_vccz .LBB9_2155
; %bb.2141:
	s_cmp_lt_i32 s14, 27
	s_mov_b64 s[8:9], -1
	s_cbranch_scc1 .LBB9_2147
; %bb.2142:
	s_cmp_gt_i32 s14, 27
	s_cbranch_scc0 .LBB9_2144
; %bb.2143:
	v_cvt_u32_f64_e32 v2, v[12:13]
	s_mov_b64 s[8:9], 0
	global_store_dword v[0:1], v2, off
.LBB9_2144:
	s_andn2_b64 vcc, exec, s[8:9]
	s_cbranch_vccnz .LBB9_2146
; %bb.2145:
	v_cvt_u32_f64_e32 v2, v[12:13]
	global_store_short v[0:1], v2, off
.LBB9_2146:
	s_mov_b64 s[8:9], 0
.LBB9_2147:
	s_andn2_b64 vcc, exec, s[8:9]
	s_cbranch_vccnz .LBB9_2155
; %bb.2148:
	v_cvt_f32_f64_e32 v2, v[12:13]
	s_mov_b32 s8, 0x43800000
	v_mov_b32_e32 v4, 0x80
	v_and_b32_e32 v3, 0x7fffffff, v2
	v_cmp_gt_u32_e32 vcc, s8, v3
	s_and_saveexec_b64 s[8:9], vcc
	s_cbranch_execz .LBB9_2154
; %bb.2149:
	s_mov_b32 s10, 0x3bffffff
	v_cmp_lt_u32_e32 vcc, s10, v3
	s_mov_b64 s[10:11], 0
                                        ; implicit-def: $vgpr3
	s_and_saveexec_b64 s[12:13], vcc
	s_xor_b64 s[12:13], exec, s[12:13]
	s_cbranch_execz .LBB9_2216
; %bb.2150:
	v_bfe_u32 v3, v2, 20, 1
	s_mov_b32 s15, 0x487ffff
	v_add3_u32 v3, v2, v3, s15
	s_mov_b64 s[10:11], exec
	v_lshrrev_b32_e32 v3, 20, v3
	s_andn2_saveexec_b64 s[12:13], s[12:13]
	s_cbranch_execnz .LBB9_2217
.LBB9_2151:
	s_or_b64 exec, exec, s[12:13]
	v_mov_b32_e32 v4, 0
	s_and_saveexec_b64 s[12:13], s[10:11]
.LBB9_2152:
	v_lshrrev_b32_e32 v2, 24, v2
	s_movk_i32 s10, 0x80
	v_and_or_b32 v4, v2, s10, v3
.LBB9_2153:
	s_or_b64 exec, exec, s[12:13]
.LBB9_2154:
	s_or_b64 exec, exec, s[8:9]
	global_store_byte v[0:1], v4, off
.LBB9_2155:
	s_mov_b64 s[8:9], 0
.LBB9_2156:
	s_and_b64 vcc, exec, s[8:9]
	s_cbranch_vccz .LBB9_2196
; %bb.2157:
	s_cmp_gt_i32 s14, 22
	s_mov_b64 s[4:5], -1
	s_cbranch_scc0 .LBB9_2189
; %bb.2158:
	s_cmp_lt_i32 s14, 24
	s_cbranch_scc1 .LBB9_2178
; %bb.2159:
	s_cmp_gt_i32 s14, 24
	s_cbranch_scc0 .LBB9_2167
; %bb.2160:
	v_cvt_f32_f64_e32 v2, v[12:13]
	s_mov_b32 s4, 0x47800000
	v_mov_b32_e32 v4, 0x80
	v_and_b32_e32 v3, 0x7fffffff, v2
	v_cmp_gt_u32_e32 vcc, s4, v3
	s_and_saveexec_b64 s[4:5], vcc
	s_cbranch_execz .LBB9_2166
; %bb.2161:
	s_mov_b32 s8, 0x37ffffff
	v_cmp_lt_u32_e32 vcc, s8, v3
	s_mov_b64 s[8:9], 0
                                        ; implicit-def: $vgpr3
	s_and_saveexec_b64 s[10:11], vcc
	s_xor_b64 s[10:11], exec, s[10:11]
	s_cbranch_execz .LBB9_2219
; %bb.2162:
	v_bfe_u32 v3, v2, 21, 1
	s_mov_b32 s12, 0x88fffff
	v_add3_u32 v3, v2, v3, s12
	s_mov_b64 s[8:9], exec
	v_lshrrev_b32_e32 v3, 21, v3
	s_andn2_saveexec_b64 s[10:11], s[10:11]
	s_cbranch_execnz .LBB9_2220
.LBB9_2163:
	s_or_b64 exec, exec, s[10:11]
	v_mov_b32_e32 v4, 0
	s_and_saveexec_b64 s[10:11], s[8:9]
.LBB9_2164:
	v_lshrrev_b32_e32 v2, 24, v2
	s_movk_i32 s8, 0x80
	v_and_or_b32 v4, v2, s8, v3
.LBB9_2165:
	s_or_b64 exec, exec, s[10:11]
.LBB9_2166:
	s_or_b64 exec, exec, s[4:5]
	s_mov_b64 s[4:5], 0
	global_store_byte v[0:1], v4, off
.LBB9_2167:
	s_and_b64 vcc, exec, s[4:5]
	s_cbranch_vccz .LBB9_2177
; %bb.2168:
	v_cvt_f32_f64_e32 v2, v[12:13]
	s_mov_b32 s4, 0x43f00000
                                        ; implicit-def: $vgpr3
	v_and_b32_e32 v4, 0x7fffffff, v2
	v_cmp_gt_u32_e32 vcc, s4, v4
	s_and_saveexec_b64 s[4:5], vcc
	s_xor_b64 s[4:5], exec, s[4:5]
	s_cbranch_execz .LBB9_2174
; %bb.2169:
	s_mov_b32 s8, 0x3c7fffff
	v_cmp_lt_u32_e32 vcc, s8, v4
                                        ; implicit-def: $vgpr3
	s_and_saveexec_b64 s[8:9], vcc
	s_xor_b64 s[8:9], exec, s[8:9]
; %bb.2170:
	v_bfe_u32 v3, v2, 20, 1
	s_mov_b32 s10, 0x407ffff
	v_add3_u32 v3, v2, v3, s10
	v_lshrrev_b32_e32 v4, 20, v3
	v_and_b32_e32 v3, 0xff00000, v3
	s_mov_b32 s10, 0x7f00000
	v_mov_b32_e32 v5, 0x7e
	v_cmp_ne_u32_e32 vcc, s10, v3
	v_cndmask_b32_e32 v3, v5, v4, vcc
; %bb.2171:
	s_andn2_saveexec_b64 s[8:9], s[8:9]
; %bb.2172:
	s_mov_b32 s10, 0x46800000
	v_add_f32_e64 v3, |v2|, s10
; %bb.2173:
	s_or_b64 exec, exec, s[8:9]
                                        ; implicit-def: $vgpr4
.LBB9_2174:
	s_andn2_saveexec_b64 s[4:5], s[4:5]
; %bb.2175:
	s_mov_b32 s8, 0x7f800000
	v_mov_b32_e32 v3, 0x7e
	v_mov_b32_e32 v5, 0x7f
	v_cmp_lt_u32_e32 vcc, s8, v4
	v_cndmask_b32_e32 v3, v3, v5, vcc
; %bb.2176:
	s_or_b64 exec, exec, s[4:5]
	v_lshrrev_b32_e32 v2, 24, v2
	s_movk_i32 s4, 0x80
	v_and_or_b32 v2, v2, s4, v3
	global_store_byte v[0:1], v2, off
.LBB9_2177:
	s_mov_b64 s[4:5], 0
.LBB9_2178:
	s_andn2_b64 vcc, exec, s[4:5]
	s_cbranch_vccnz .LBB9_2188
; %bb.2179:
	v_cvt_f32_f64_e32 v2, v[12:13]
	s_mov_b32 s4, 0x47800000
                                        ; implicit-def: $vgpr3
	v_and_b32_e32 v4, 0x7fffffff, v2
	v_cmp_gt_u32_e32 vcc, s4, v4
	s_and_saveexec_b64 s[4:5], vcc
	s_xor_b64 s[4:5], exec, s[4:5]
	s_cbranch_execz .LBB9_2185
; %bb.2180:
	s_mov_b32 s8, 0x387fffff
	v_cmp_lt_u32_e32 vcc, s8, v4
                                        ; implicit-def: $vgpr3
	s_and_saveexec_b64 s[8:9], vcc
	s_xor_b64 s[8:9], exec, s[8:9]
; %bb.2181:
	v_bfe_u32 v3, v2, 21, 1
	s_mov_b32 s10, 0x80fffff
	v_add3_u32 v3, v2, v3, s10
	v_lshrrev_b32_e32 v3, 21, v3
; %bb.2182:
	s_andn2_saveexec_b64 s[8:9], s[8:9]
; %bb.2183:
	s_mov_b32 s10, 0x43000000
	v_add_f32_e64 v3, |v2|, s10
; %bb.2184:
	s_or_b64 exec, exec, s[8:9]
                                        ; implicit-def: $vgpr4
.LBB9_2185:
	s_andn2_saveexec_b64 s[4:5], s[4:5]
; %bb.2186:
	s_mov_b32 s8, 0x7f800000
	v_mov_b32_e32 v3, 0x7c
	v_mov_b32_e32 v5, 0x7f
	v_cmp_lt_u32_e32 vcc, s8, v4
	v_cndmask_b32_e32 v3, v3, v5, vcc
; %bb.2187:
	s_or_b64 exec, exec, s[4:5]
	v_lshrrev_b32_e32 v2, 24, v2
	s_movk_i32 s4, 0x80
	v_and_or_b32 v2, v2, s4, v3
	global_store_byte v[0:1], v2, off
.LBB9_2188:
	s_mov_b64 s[4:5], 0
.LBB9_2189:
	s_andn2_b64 vcc, exec, s[4:5]
	s_mov_b64 s[4:5], 0
	s_cbranch_vccnz .LBB9_2196
; %bb.2190:
	s_cmp_gt_i32 s14, 14
	s_mov_b64 s[8:9], -1
	s_cbranch_scc0 .LBB9_2194
; %bb.2191:
	s_cmp_eq_u32 s14, 15
	s_mov_b64 s[0:1], -1
	s_cbranch_scc0 .LBB9_2193
; %bb.2192:
	v_cvt_f32_f64_e32 v2, v[12:13]
	s_movk_i32 s0, 0x7fff
	v_mov_b32_e32 v3, 0x7fc0
	v_bfe_u32 v4, v2, 16, 1
	v_cmp_o_f32_e32 vcc, v2, v2
	v_add3_u32 v2, v2, v4, s0
	v_cndmask_b32_sdwa v2, v3, v2, vcc dst_sel:DWORD dst_unused:UNUSED_PAD src0_sel:DWORD src1_sel:WORD_1
	global_store_short v[0:1], v2, off
	s_mov_b64 s[0:1], 0
.LBB9_2193:
	s_mov_b64 s[8:9], 0
.LBB9_2194:
	s_and_b64 vcc, exec, s[8:9]
	s_cbranch_vccz .LBB9_2196
; %bb.2195:
	s_cmp_lg_u32 s14, 11
	s_mov_b64 s[4:5], -1
	s_cselect_b64 s[0:1], -1, 0
.LBB9_2196:
	s_and_b64 vcc, exec, s[0:1]
	s_cbranch_vccnz .LBB9_2218
.LBB9_2197:
	s_mov_b64 s[0:1], 0
	s_branch .LBB9_1799
.LBB9_2198:
	s_mov_b64 s[0:1], 0
                                        ; implicit-def: $vgpr0_vgpr1
                                        ; implicit-def: $sgpr16
	s_branch .LBB9_1798
.LBB9_2199:
	s_mov_b64 s[4:5], 0
	s_mov_b64 s[0:1], -1
	s_branch .LBB9_1799
.LBB9_2200:
	s_trap 2
	s_or_b64 s[2:3], s[2:3], exec
	s_cbranch_execz .LBB9_1659
	s_branch .LBB9_1660
.LBB9_2201:
	s_andn2_saveexec_b64 s[14:15], s[14:15]
	s_cbranch_execz .LBB9_1747
.LBB9_2202:
	s_mov_b32 s18, 0x46000000
	v_add_f32_e64 v3, |v2|, s18
	v_and_b32_e32 v3, 0xff, v3
	v_cmp_ne_u32_e32 vcc, 0, v3
	s_andn2_b64 s[12:13], s[12:13], exec
	s_and_b64 s[18:19], vcc, exec
	s_or_b64 s[12:13], s[12:13], s[18:19]
	s_or_b64 exec, exec, s[14:15]
	v_mov_b32_e32 v7, 0
	s_and_saveexec_b64 s[14:15], s[12:13]
	s_cbranch_execnz .LBB9_1748
	s_branch .LBB9_1749
.LBB9_2203:
	s_trap 2
	s_or_b64 s[2:3], s[2:3], exec
	s_cbranch_execz .LBB9_1795
	s_branch .LBB9_1796
.LBB9_2204:
	s_andn2_saveexec_b64 s[12:13], s[12:13]
	s_cbranch_execz .LBB9_1760
.LBB9_2205:
	s_mov_b32 s14, 0x42800000
	v_add_f32_e64 v3, |v2|, s14
	v_and_b32_e32 v3, 0xff, v3
	v_cmp_ne_u32_e32 vcc, 0, v3
	s_andn2_b64 s[10:11], s[10:11], exec
	s_and_b64 s[14:15], vcc, exec
	s_or_b64 s[10:11], s[10:11], s[14:15]
	s_or_b64 exec, exec, s[12:13]
	v_mov_b32_e32 v7, 0
	s_and_saveexec_b64 s[12:13], s[10:11]
	s_cbranch_execnz .LBB9_1761
	s_branch .LBB9_1762
.LBB9_2206:
	s_andn2_saveexec_b64 s[14:15], s[14:15]
	s_cbranch_execz .LBB9_1912
.LBB9_2207:
	s_mov_b32 s18, 0x46000000
	v_add_f32_e64 v3, |v2|, s18
	v_and_b32_e32 v3, 0xff, v3
	v_cmp_ne_u32_e32 vcc, 0, v3
	s_andn2_b64 s[12:13], s[12:13], exec
	s_and_b64 s[18:19], vcc, exec
	s_or_b64 s[12:13], s[12:13], s[18:19]
	s_or_b64 exec, exec, s[14:15]
	v_mov_b32_e32 v6, 0
	s_and_saveexec_b64 s[14:15], s[12:13]
	s_cbranch_execnz .LBB9_1913
	s_branch .LBB9_1914
.LBB9_2208:
	s_trap 2
	s_or_b64 s[2:3], s[2:3], exec
	s_cbranch_execz .LBB9_1960
	s_branch .LBB9_1961
.LBB9_2209:
	s_andn2_saveexec_b64 s[12:13], s[12:13]
	s_cbranch_execz .LBB9_1925
.LBB9_2210:
	s_mov_b32 s14, 0x42800000
	v_add_f32_e64 v3, |v2|, s14
	v_and_b32_e32 v3, 0xff, v3
	v_cmp_ne_u32_e32 vcc, 0, v3
	s_andn2_b64 s[10:11], s[10:11], exec
	s_and_b64 s[14:15], vcc, exec
	s_or_b64 s[10:11], s[10:11], s[14:15]
	s_or_b64 exec, exec, s[12:13]
	v_mov_b32_e32 v6, 0
	s_and_saveexec_b64 s[12:13], s[10:11]
	s_cbranch_execnz .LBB9_1926
	s_branch .LBB9_1927
.LBB9_2211:
	s_andn2_saveexec_b64 s[14:15], s[14:15]
	s_cbranch_execz .LBB9_2031
.LBB9_2212:
	s_mov_b32 s18, 0x46000000
	v_add_f32_e64 v3, |v2|, s18
	v_and_b32_e32 v3, 0xff, v3
	v_cmp_ne_u32_e32 vcc, 0, v3
	s_andn2_b64 s[12:13], s[12:13], exec
	s_and_b64 s[18:19], vcc, exec
	s_or_b64 s[12:13], s[12:13], s[18:19]
	s_or_b64 exec, exec, s[14:15]
	v_mov_b32_e32 v4, 0
	s_and_saveexec_b64 s[14:15], s[12:13]
	s_cbranch_execnz .LBB9_2032
	s_branch .LBB9_2033
.LBB9_2213:
	s_trap 2
	s_or_b64 s[2:3], s[2:3], exec
	s_cbranch_execz .LBB9_2079
	s_branch .LBB9_2080
.LBB9_2214:
	s_andn2_saveexec_b64 s[12:13], s[12:13]
	s_cbranch_execz .LBB9_2044
.LBB9_2215:
	s_mov_b32 s14, 0x42800000
	v_add_f32_e64 v3, |v2|, s14
	v_and_b32_e32 v3, 0xff, v3
	v_cmp_ne_u32_e32 vcc, 0, v3
	s_andn2_b64 s[10:11], s[10:11], exec
	s_and_b64 s[14:15], vcc, exec
	s_or_b64 s[10:11], s[10:11], s[14:15]
	s_or_b64 exec, exec, s[12:13]
	v_mov_b32_e32 v4, 0
	s_and_saveexec_b64 s[12:13], s[10:11]
	s_cbranch_execnz .LBB9_2045
	s_branch .LBB9_2046
.LBB9_2216:
	s_andn2_saveexec_b64 s[12:13], s[12:13]
	s_cbranch_execz .LBB9_2151
.LBB9_2217:
	s_mov_b32 s15, 0x46000000
	v_add_f32_e64 v3, |v2|, s15
	v_and_b32_e32 v3, 0xff, v3
	v_cmp_ne_u32_e32 vcc, 0, v3
	s_andn2_b64 s[10:11], s[10:11], exec
	s_and_b64 s[18:19], vcc, exec
	s_or_b64 s[10:11], s[10:11], s[18:19]
	s_or_b64 exec, exec, s[12:13]
	v_mov_b32_e32 v4, 0
	s_and_saveexec_b64 s[12:13], s[10:11]
	s_cbranch_execnz .LBB9_2152
	s_branch .LBB9_2153
.LBB9_2218:
	s_mov_b64 s[4:5], 0
	s_or_b64 s[2:3], s[2:3], exec
	s_trap 2
	s_branch .LBB9_2197
.LBB9_2219:
	s_andn2_saveexec_b64 s[10:11], s[10:11]
	s_cbranch_execz .LBB9_2163
.LBB9_2220:
	s_mov_b32 s12, 0x42800000
	v_add_f32_e64 v3, |v2|, s12
	v_and_b32_e32 v3, 0xff, v3
	v_cmp_ne_u32_e32 vcc, 0, v3
	s_andn2_b64 s[8:9], s[8:9], exec
	s_and_b64 s[12:13], vcc, exec
	s_or_b64 s[8:9], s[8:9], s[12:13]
	s_or_b64 exec, exec, s[10:11]
	v_mov_b32_e32 v4, 0
	s_and_saveexec_b64 s[10:11], s[8:9]
	s_cbranch_execnz .LBB9_2164
	s_branch .LBB9_2165
	.section	.rodata,"a",@progbits
	.p2align	6, 0x0
	.amdhsa_kernel _ZN2at6native32elementwise_kernel_manual_unrollILi128ELi4EZNS0_15gpu_kernel_implIZZZNS0_12_GLOBAL__N_137scaled_modified_bessel_k0_kernel_cudaERNS_18TensorIteratorBaseEENKUlvE_clEvENKUlvE_clEvEUldE_EEvS5_RKT_EUlibE0_EEviT1_
		.amdhsa_group_segment_fixed_size 0
		.amdhsa_private_segment_fixed_size 0
		.amdhsa_kernarg_size 360
		.amdhsa_user_sgpr_count 6
		.amdhsa_user_sgpr_private_segment_buffer 1
		.amdhsa_user_sgpr_dispatch_ptr 0
		.amdhsa_user_sgpr_queue_ptr 0
		.amdhsa_user_sgpr_kernarg_segment_ptr 1
		.amdhsa_user_sgpr_dispatch_id 0
		.amdhsa_user_sgpr_flat_scratch_init 0
		.amdhsa_user_sgpr_private_segment_size 0
		.amdhsa_uses_dynamic_stack 0
		.amdhsa_system_sgpr_private_segment_wavefront_offset 0
		.amdhsa_system_sgpr_workgroup_id_x 1
		.amdhsa_system_sgpr_workgroup_id_y 0
		.amdhsa_system_sgpr_workgroup_id_z 0
		.amdhsa_system_sgpr_workgroup_info 0
		.amdhsa_system_vgpr_workitem_id 0
		.amdhsa_next_free_vgpr 51
		.amdhsa_next_free_sgpr 84
		.amdhsa_reserve_vcc 1
		.amdhsa_reserve_flat_scratch 0
		.amdhsa_float_round_mode_32 0
		.amdhsa_float_round_mode_16_64 0
		.amdhsa_float_denorm_mode_32 3
		.amdhsa_float_denorm_mode_16_64 3
		.amdhsa_dx10_clamp 1
		.amdhsa_ieee_mode 1
		.amdhsa_fp16_overflow 0
		.amdhsa_exception_fp_ieee_invalid_op 0
		.amdhsa_exception_fp_denorm_src 0
		.amdhsa_exception_fp_ieee_div_zero 0
		.amdhsa_exception_fp_ieee_overflow 0
		.amdhsa_exception_fp_ieee_underflow 0
		.amdhsa_exception_fp_ieee_inexact 0
		.amdhsa_exception_int_div_zero 0
	.end_amdhsa_kernel
	.section	.text._ZN2at6native32elementwise_kernel_manual_unrollILi128ELi4EZNS0_15gpu_kernel_implIZZZNS0_12_GLOBAL__N_137scaled_modified_bessel_k0_kernel_cudaERNS_18TensorIteratorBaseEENKUlvE_clEvENKUlvE_clEvEUldE_EEvS5_RKT_EUlibE0_EEviT1_,"axG",@progbits,_ZN2at6native32elementwise_kernel_manual_unrollILi128ELi4EZNS0_15gpu_kernel_implIZZZNS0_12_GLOBAL__N_137scaled_modified_bessel_k0_kernel_cudaERNS_18TensorIteratorBaseEENKUlvE_clEvENKUlvE_clEvEUldE_EEvS5_RKT_EUlibE0_EEviT1_,comdat
.Lfunc_end9:
	.size	_ZN2at6native32elementwise_kernel_manual_unrollILi128ELi4EZNS0_15gpu_kernel_implIZZZNS0_12_GLOBAL__N_137scaled_modified_bessel_k0_kernel_cudaERNS_18TensorIteratorBaseEENKUlvE_clEvENKUlvE_clEvEUldE_EEvS5_RKT_EUlibE0_EEviT1_, .Lfunc_end9-_ZN2at6native32elementwise_kernel_manual_unrollILi128ELi4EZNS0_15gpu_kernel_implIZZZNS0_12_GLOBAL__N_137scaled_modified_bessel_k0_kernel_cudaERNS_18TensorIteratorBaseEENKUlvE_clEvENKUlvE_clEvEUldE_EEvS5_RKT_EUlibE0_EEviT1_
                                        ; -- End function
	.set _ZN2at6native32elementwise_kernel_manual_unrollILi128ELi4EZNS0_15gpu_kernel_implIZZZNS0_12_GLOBAL__N_137scaled_modified_bessel_k0_kernel_cudaERNS_18TensorIteratorBaseEENKUlvE_clEvENKUlvE_clEvEUldE_EEvS5_RKT_EUlibE0_EEviT1_.num_vgpr, 51
	.set _ZN2at6native32elementwise_kernel_manual_unrollILi128ELi4EZNS0_15gpu_kernel_implIZZZNS0_12_GLOBAL__N_137scaled_modified_bessel_k0_kernel_cudaERNS_18TensorIteratorBaseEENKUlvE_clEvENKUlvE_clEvEUldE_EEvS5_RKT_EUlibE0_EEviT1_.num_agpr, 0
	.set _ZN2at6native32elementwise_kernel_manual_unrollILi128ELi4EZNS0_15gpu_kernel_implIZZZNS0_12_GLOBAL__N_137scaled_modified_bessel_k0_kernel_cudaERNS_18TensorIteratorBaseEENKUlvE_clEvENKUlvE_clEvEUldE_EEvS5_RKT_EUlibE0_EEviT1_.numbered_sgpr, 84
	.set _ZN2at6native32elementwise_kernel_manual_unrollILi128ELi4EZNS0_15gpu_kernel_implIZZZNS0_12_GLOBAL__N_137scaled_modified_bessel_k0_kernel_cudaERNS_18TensorIteratorBaseEENKUlvE_clEvENKUlvE_clEvEUldE_EEvS5_RKT_EUlibE0_EEviT1_.num_named_barrier, 0
	.set _ZN2at6native32elementwise_kernel_manual_unrollILi128ELi4EZNS0_15gpu_kernel_implIZZZNS0_12_GLOBAL__N_137scaled_modified_bessel_k0_kernel_cudaERNS_18TensorIteratorBaseEENKUlvE_clEvENKUlvE_clEvEUldE_EEvS5_RKT_EUlibE0_EEviT1_.private_seg_size, 0
	.set _ZN2at6native32elementwise_kernel_manual_unrollILi128ELi4EZNS0_15gpu_kernel_implIZZZNS0_12_GLOBAL__N_137scaled_modified_bessel_k0_kernel_cudaERNS_18TensorIteratorBaseEENKUlvE_clEvENKUlvE_clEvEUldE_EEvS5_RKT_EUlibE0_EEviT1_.uses_vcc, 1
	.set _ZN2at6native32elementwise_kernel_manual_unrollILi128ELi4EZNS0_15gpu_kernel_implIZZZNS0_12_GLOBAL__N_137scaled_modified_bessel_k0_kernel_cudaERNS_18TensorIteratorBaseEENKUlvE_clEvENKUlvE_clEvEUldE_EEvS5_RKT_EUlibE0_EEviT1_.uses_flat_scratch, 0
	.set _ZN2at6native32elementwise_kernel_manual_unrollILi128ELi4EZNS0_15gpu_kernel_implIZZZNS0_12_GLOBAL__N_137scaled_modified_bessel_k0_kernel_cudaERNS_18TensorIteratorBaseEENKUlvE_clEvENKUlvE_clEvEUldE_EEvS5_RKT_EUlibE0_EEviT1_.has_dyn_sized_stack, 0
	.set _ZN2at6native32elementwise_kernel_manual_unrollILi128ELi4EZNS0_15gpu_kernel_implIZZZNS0_12_GLOBAL__N_137scaled_modified_bessel_k0_kernel_cudaERNS_18TensorIteratorBaseEENKUlvE_clEvENKUlvE_clEvEUldE_EEvS5_RKT_EUlibE0_EEviT1_.has_recursion, 0
	.set _ZN2at6native32elementwise_kernel_manual_unrollILi128ELi4EZNS0_15gpu_kernel_implIZZZNS0_12_GLOBAL__N_137scaled_modified_bessel_k0_kernel_cudaERNS_18TensorIteratorBaseEENKUlvE_clEvENKUlvE_clEvEUldE_EEvS5_RKT_EUlibE0_EEviT1_.has_indirect_call, 0
	.section	.AMDGPU.csdata,"",@progbits
; Kernel info:
; codeLenInByte = 69928
; TotalNumSgprs: 88
; NumVgprs: 51
; ScratchSize: 0
; MemoryBound: 1
; FloatMode: 240
; IeeeMode: 1
; LDSByteSize: 0 bytes/workgroup (compile time only)
; SGPRBlocks: 10
; VGPRBlocks: 12
; NumSGPRsForWavesPerEU: 88
; NumVGPRsForWavesPerEU: 51
; Occupancy: 4
; WaveLimiterHint : 1
; COMPUTE_PGM_RSRC2:SCRATCH_EN: 0
; COMPUTE_PGM_RSRC2:USER_SGPR: 6
; COMPUTE_PGM_RSRC2:TRAP_HANDLER: 0
; COMPUTE_PGM_RSRC2:TGID_X_EN: 1
; COMPUTE_PGM_RSRC2:TGID_Y_EN: 0
; COMPUTE_PGM_RSRC2:TGID_Z_EN: 0
; COMPUTE_PGM_RSRC2:TIDIG_COMP_CNT: 0
	.text
	.p2align	2                               ; -- Begin function _ZN2at6native25elementwise_kernel_helperILb0EZZZNS0_12_GLOBAL__N_137scaled_modified_bessel_k0_kernel_cudaERNS_18TensorIteratorBaseEENKUlvE_clEvENKUlvE0_clEvEUlfE_NS0_6memory8policies11unroll_baseILi256ESt5arrayIPcLm2EE23TrivialOffsetCalculatorILi1EjESF_NS8_15LoadWithoutCastENS8_16StoreWithoutCastELi4ELi1EEEEEvT0_T1_
	.type	_ZN2at6native25elementwise_kernel_helperILb0EZZZNS0_12_GLOBAL__N_137scaled_modified_bessel_k0_kernel_cudaERNS_18TensorIteratorBaseEENKUlvE_clEvENKUlvE0_clEvEUlfE_NS0_6memory8policies11unroll_baseILi256ESt5arrayIPcLm2EE23TrivialOffsetCalculatorILi1EjESF_NS8_15LoadWithoutCastENS8_16StoreWithoutCastELi4ELi1EEEEEvT0_T1_,@function
_ZN2at6native25elementwise_kernel_helperILb0EZZZNS0_12_GLOBAL__N_137scaled_modified_bessel_k0_kernel_cudaERNS_18TensorIteratorBaseEENKUlvE_clEvENKUlvE0_clEvEUlfE_NS0_6memory8policies11unroll_baseILi256ESt5arrayIPcLm2EE23TrivialOffsetCalculatorILi1EjESF_NS8_15LoadWithoutCastENS8_16StoreWithoutCastELi4ELi1EEEEEvT0_T1_: ; @_ZN2at6native25elementwise_kernel_helperILb0EZZZNS0_12_GLOBAL__N_137scaled_modified_bessel_k0_kernel_cudaERNS_18TensorIteratorBaseEENKUlvE_clEvENKUlvE0_clEvEUlfE_NS0_6memory8policies11unroll_baseILi256ESt5arrayIPcLm2EE23TrivialOffsetCalculatorILi1EjESF_NS8_15LoadWithoutCastENS8_16StoreWithoutCastELi4ELi1EEEEEvT0_T1_
; %bb.0:
	s_waitcnt vmcnt(0) expcnt(0) lgkmcnt(0)
	v_and_b32_e32 v7, 0x3ff, v31
	s_lshl_b32 s16, s12, 10
	v_cmp_lt_i32_e64 s[4:5], v7, v4
	v_mov_b32_e32 v12, 0
	v_or_b32_e32 v5, s16, v7
	v_mov_b32_e32 v13, 0
	v_mov_b32_e32 v9, v7
	s_and_saveexec_b64 s[6:7], s[4:5]
	s_cbranch_execz .LBB10_2
; %bb.1:
	v_mov_b32_e32 v6, 0
	v_lshlrev_b64 v[8:9], 2, v[5:6]
	v_add_co_u32_e32 v8, vcc, v2, v8
	v_addc_co_u32_e32 v9, vcc, v3, v9, vcc
	flat_load_dword v13, v[8:9]
	v_add_u32_e32 v9, 0x100, v7
.LBB10_2:
	s_or_b64 exec, exec, s[6:7]
	v_cmp_lt_i32_e32 vcc, v9, v4
	s_and_saveexec_b64 s[6:7], vcc
	s_cbranch_execz .LBB10_4
; %bb.3:
	v_add_u32_e32 v10, s16, v9
	v_mov_b32_e32 v11, 0
	v_lshlrev_b64 v[10:11], 2, v[10:11]
	v_add_u32_e32 v9, 0x100, v9
	v_add_co_u32_e32 v10, vcc, v2, v10
	v_addc_co_u32_e32 v11, vcc, v3, v11, vcc
	flat_load_dword v12, v[10:11]
.LBB10_4:
	s_or_b64 exec, exec, s[6:7]
	v_cmp_lt_i32_e32 vcc, v9, v4
	v_mov_b32_e32 v6, 0
	v_mov_b32_e32 v8, 0
	s_and_saveexec_b64 s[6:7], vcc
	s_cbranch_execz .LBB10_6
; %bb.5:
	v_add_u32_e32 v10, s16, v9
	v_mov_b32_e32 v11, 0
	v_lshlrev_b64 v[10:11], 2, v[10:11]
	v_add_u32_e32 v9, 0x100, v9
	v_add_co_u32_e32 v10, vcc, v2, v10
	v_addc_co_u32_e32 v11, vcc, v3, v11, vcc
	flat_load_dword v8, v[10:11]
.LBB10_6:
	s_or_b64 exec, exec, s[6:7]
	v_cmp_lt_i32_e32 vcc, v9, v4
	s_and_saveexec_b64 s[6:7], vcc
	s_cbranch_execz .LBB10_8
; %bb.7:
	v_add_u32_e32 v9, s16, v9
	v_mov_b32_e32 v10, 0
	v_lshlrev_b64 v[9:10], 2, v[9:10]
	v_add_co_u32_e32 v2, vcc, v2, v9
	v_addc_co_u32_e32 v3, vcc, v3, v10, vcc
	flat_load_dword v6, v[2:3]
.LBB10_8:
	s_or_b64 exec, exec, s[6:7]
	v_mov_b32_e32 v2, 0
	v_mov_b32_e32 v11, v2
	;; [unrolled: 1-line block ×4, first 2 shown]
	s_and_saveexec_b64 s[8:9], s[4:5]
	s_cbranch_execz .LBB10_18
; %bb.9:
	s_waitcnt vmcnt(0) lgkmcnt(0)
	v_cmp_neq_f32_e32 vcc, 0, v13
	v_mov_b32_e32 v2, 0x7f800000
	s_and_saveexec_b64 s[10:11], vcc
	s_cbranch_execz .LBB10_17
; %bb.10:
	v_cmp_ngt_f32_e32 vcc, 0, v13
	v_mov_b32_e32 v2, 0x7fc00000
	s_and_saveexec_b64 s[12:13], vcc
	s_cbranch_execz .LBB10_16
; %bb.11:
	v_cmp_ge_f32_e32 vcc, 2.0, v13
                                        ; implicit-def: $vgpr2
	s_and_saveexec_b64 s[6:7], vcc
	s_xor_b64 s[14:15], exec, s[6:7]
	s_cbranch_execz .LBB10_13
; %bb.12:
	v_fma_f32 v2, v13, v13, -2.0
	v_mov_b32_e32 v3, 0x293fd856
	v_fmac_f32_e32 v3, 0x251e770f, v2
	v_mov_b32_e32 v9, 0xa51e770f
	v_fmac_f32_e32 v9, v2, v3
	v_add_f32_e32 v9, 0x2d3612e2, v9
	v_fma_f32 v3, v2, v9, -v3
	v_add_f32_e32 v3, 0x3102e09b, v3
	v_fma_f32 v9, v2, v3, -v9
	;; [unrolled: 2-line block ×7, first 2 shown]
	v_mul_f32_e32 v9, 0.5, v13
	s_mov_b32 s6, 0x800000
	v_cmp_gt_f32_e32 vcc, s6, v9
	v_cndmask_b32_e64 v10, 0, 32, vcc
	v_ldexp_f32 v9, v9, v10
	v_log_f32_e32 v9, v9
	v_add_f32_e32 v2, 0xbf090b37, v2
	v_sub_f32_e32 v2, v2, v3
	s_mov_b32 s6, 0x3f317217
	v_mul_f32_e32 v3, 0x3f317217, v9
	v_fma_f32 v3, v9, s6, -v3
	v_fmac_f32_e32 v3, 0x3377d1cf, v9
	s_mov_b32 s6, 0x7f800000
	v_fmac_f32_e32 v3, 0x3f317217, v9
	v_cmp_lt_f32_e64 s[6:7], |v9|, s6
	v_cndmask_b32_e64 v3, v9, v3, s[6:7]
	v_mul_f32_e32 v9, 0x3fb8aa3b, v13
	s_mov_b32 s6, 0x3fb8aa3b
	v_rndne_f32_e32 v10, v9
	v_sub_f32_e32 v11, v9, v10
	v_fma_f32 v9, v13, s6, -v9
	v_fmac_f32_e32 v9, 0x32a5705f, v13
	v_add_f32_e32 v9, v11, v9
	v_exp_f32_e32 v9, v9
	v_cvt_i32_f32_e32 v10, v10
	v_mov_b32_e32 v11, 0x41b17218
	s_mov_b32 s6, 0xc2ce8ed0
	v_cndmask_b32_e32 v11, 0, v11, vcc
	v_ldexp_f32 v9, v9, v10
	v_cmp_ngt_f32_e32 vcc, s6, v13
	s_mov_b32 s6, 0x42b17218
	v_cndmask_b32_e32 v9, 0, v9, vcc
	v_mov_b32_e32 v10, 0x7f800000
	v_cmp_nlt_f32_e32 vcc, s6, v13
	v_sub_f32_e32 v3, v3, v11
	v_cndmask_b32_e32 v9, v10, v9, vcc
	v_fma_f32 v10, v13, 0.5, -2.0
	v_mov_b32_e32 v11, 0x24199b15
	v_fmac_f32_e32 v11, 0xa2a2e5b9, v10
	v_mov_b32_e32 v13, 0x22a2e5b9
	v_fmac_f32_e32 v13, v10, v11
	v_add_f32_e32 v13, 0xa58c275c, v13
	v_fma_f32 v11, v10, v13, -v11
	v_add_f32_e32 v11, 0x26f736c5, v11
	v_fma_f32 v13, v10, v11, -v13
	v_add_f32_e32 v13, 0xa8528116, v13
	v_fma_f32 v11, v10, v13, -v11
	v_add_f32_e32 v11, 0x29acda32, v11
	v_fma_f32 v13, v10, v11, -v13
	v_add_f32_e32 v13, 0xab08b263, v13
	v_fma_f32 v11, v10, v13, -v11
	v_add_f32_e32 v11, 0x2c4ff17f, v11
	v_fma_f32 v13, v10, v11, -v13
	v_add_f32_e32 v13, 0xad97e4ac, v13
	v_fma_f32 v11, v10, v13, -v11
	v_add_f32_e32 v11, 0x2ed4c5f6, v11
	v_fma_f32 v13, v10, v11, -v13
	v_add_f32_e32 v13, 0xb00ea7f1, v13
	v_fma_f32 v11, v10, v13, -v11
	v_add_f32_e32 v11, 0x3136c81d, v11
	v_fma_f32 v13, v10, v11, -v13
	v_add_f32_e32 v13, 0xb25f57b4, v13
	v_fma_f32 v11, v10, v13, -v11
	v_add_f32_e32 v11, 0x3381dbb5, v11
	v_fma_f32 v13, v10, v11, -v13
	v_add_f32_e32 v13, 0xb48f631c, v13
	v_fma_f32 v11, v10, v13, -v11
	v_add_f32_e32 v11, 0x3595f925, v11
	v_fma_f32 v13, v10, v11, -v13
	v_add_f32_e32 v13, 0xb694337e, v13
	v_fma_f32 v11, v10, v13, -v11
	v_add_f32_e32 v11, 0x3789fac6, v11
	v_fma_f32 v13, v10, v11, -v13
	v_add_f32_e32 v13, 0xb8715933, v13
	v_fma_f32 v11, v10, v13, -v11
	v_add_f32_e32 v11, 0x3945a8dc, v11
	v_fma_f32 v13, v10, v11, -v13
	v_add_f32_e32 v13, 0xba1717e9, v13
	v_fma_f32 v11, v10, v13, -v11
	v_add_f32_e32 v11, 0x3ad6e3ac, v11
	v_fma_f32 v13, v10, v11, -v13
	v_add_f32_e32 v13, 0xbb8db2f1, v13
	v_fma_f32 v11, v10, v13, -v11
	v_add_f32_e32 v11, 0x3c2ccb10, v11
	v_fma_f32 v13, v10, v11, -v13
	v_add_f32_e32 v13, 0xbcc274f8, v13
	v_fma_f32 v11, v10, v13, -v11
	v_add_f32_e32 v11, 0x3d49f456, v11
	v_fma_f32 v13, v10, v11, -v13
	v_add_f32_e32 v13, 0xbdc25b82, v13
	v_fma_f32 v11, v10, v13, -v11
	v_add_f32_e32 v11, 0x3e2fbd64, v11
	v_fma_f32 v13, v10, v11, -v13
	v_add_f32_e32 v13, 0xbe9bff5e, v13
	v_fma_f32 v10, v10, v13, -v11
	v_add_f32_e32 v10, 0x3f2d4275, v10
	v_sub_f32_e32 v10, v10, v11
	v_mul_f32_e32 v10, 0.5, v10
	v_mul_f32_e32 v10, v9, v10
	v_mul_f32_e32 v3, v3, v10
	v_fma_f32 v2, v2, 0.5, -v3
	v_mul_f32_e32 v2, v9, v2
                                        ; implicit-def: $vgpr13
.LBB10_13:
	s_andn2_saveexec_b64 s[14:15], s[14:15]
	s_cbranch_execz .LBB10_15
; %bb.14:
	s_mov_b32 s17, 0x41000000
	v_div_scale_f32 v2, s[6:7], v13, v13, s17
	v_div_scale_f32 v3, vcc, s17, v13, s17
	s_mov_b32 s6, 0xf800000
	v_mul_f32_e32 v9, 0x4f800000, v13
	v_cmp_gt_f32_e64 s[6:7], s6, v13
	v_cndmask_b32_e64 v9, v13, v9, s[6:7]
	v_sqrt_f32_e32 v11, v9
	v_add_u32_e32 v16, 1, v11
	v_fma_f32 v18, -v16, v11, v9
	v_rcp_f32_e32 v10, v2
	v_fma_f32 v14, -v2, v10, 1.0
	v_fmac_f32_e32 v10, v14, v10
	v_mul_f32_e32 v14, v3, v10
	v_fma_f32 v15, -v2, v14, v3
	v_fmac_f32_e32 v14, v15, v10
	v_fma_f32 v2, -v2, v14, v3
	v_div_fmas_f32 v2, v2, v10, v14
	v_mov_b32_e32 v3, 0xa397f665
	v_mov_b32_e32 v10, 0xa2c38d2e
	v_add_u32_e32 v15, -1, v11
	v_fma_f32 v17, -v15, v11, v9
	v_cmp_ge_f32_e32 vcc, 0, v17
	v_cndmask_b32_e32 v11, v11, v15, vcc
	v_cmp_lt_f32_e32 vcc, 0, v18
	v_cndmask_b32_e32 v11, v11, v16, vcc
	v_mov_b32_e32 v14, 0x260
	v_mul_f32_e32 v15, 0x37800000, v11
	v_cndmask_b32_e64 v11, v11, v15, s[6:7]
	v_cmp_class_f32_e32 vcc, v9, v14
	v_cndmask_b32_e32 v9, v11, v9, vcc
	v_div_fixup_f32 v2, v2, v13, s17
	v_add_f32_e32 v2, -2.0, v2
	v_fmac_f32_e32 v3, 0x22c38d2e, v2
	v_fmac_f32_e32 v10, v2, v3
	v_add_f32_e32 v10, 0x24704972, v10
	v_fma_f32 v3, v2, v10, -v3
	v_add_f32_e32 v3, 0xa5417ca4, v3
	v_fma_f32 v10, v2, v3, -v10
	;; [unrolled: 2-line block ×22, first 2 shown]
	v_add_f32_e32 v2, 0x401c2ded, v2
	v_sub_f32_e32 v2, v2, v10
	v_mul_f32_e32 v2, 0.5, v2
	v_div_scale_f32 v3, s[6:7], v9, v9, v2
	v_div_scale_f32 v10, vcc, v2, v9, v2
	v_rcp_f32_e32 v11, v3
	v_fma_f32 v13, -v3, v11, 1.0
	v_fmac_f32_e32 v11, v13, v11
	v_mul_f32_e32 v13, v10, v11
	v_fma_f32 v14, -v3, v13, v10
	v_fmac_f32_e32 v13, v14, v11
	v_fma_f32 v3, -v3, v13, v10
	v_div_fmas_f32 v3, v3, v11, v13
	v_div_fixup_f32 v2, v3, v9, v2
.LBB10_15:
	s_or_b64 exec, exec, s[14:15]
.LBB10_16:
	s_or_b64 exec, exec, s[12:13]
.LBB10_17:
	s_or_b64 exec, exec, s[10:11]
	v_mov_b32_e32 v11, 0
	v_mov_b32_e32 v10, v11
	;; [unrolled: 1-line block ×3, first 2 shown]
.LBB10_18:
	s_or_b64 exec, exec, s[8:9]
	v_add_u32_e32 v3, 0x100, v7
	v_cmp_lt_i32_e32 vcc, v3, v4
	s_and_saveexec_b64 s[8:9], vcc
	s_cbranch_execz .LBB10_28
; %bb.19:
	s_waitcnt vmcnt(0) lgkmcnt(0)
	v_cmp_neq_f32_e32 vcc, 0, v12
	v_mov_b32_e32 v11, 0x7f800000
	s_and_saveexec_b64 s[10:11], vcc
	s_cbranch_execz .LBB10_27
; %bb.20:
	v_cmp_ngt_f32_e32 vcc, 0, v12
	v_mov_b32_e32 v11, 0x7fc00000
	s_and_saveexec_b64 s[12:13], vcc
	s_cbranch_execz .LBB10_26
; %bb.21:
	v_cmp_ge_f32_e32 vcc, 2.0, v12
	s_and_saveexec_b64 s[6:7], vcc
	s_xor_b64 s[14:15], exec, s[6:7]
                                        ; implicit-def: $vgpr11
	s_cbranch_execz .LBB10_23
; %bb.22:
	v_fma_f32 v11, v12, v12, -2.0
	v_mov_b32_e32 v13, 0x293fd856
	v_fmac_f32_e32 v13, 0x251e770f, v11
	v_mov_b32_e32 v14, 0xa51e770f
	v_fmac_f32_e32 v14, v11, v13
	v_add_f32_e32 v14, 0x2d3612e2, v14
	v_fma_f32 v13, v11, v14, -v13
	v_add_f32_e32 v13, 0x3102e09b, v13
	v_fma_f32 v14, v11, v13, -v14
	;; [unrolled: 2-line block ×7, first 2 shown]
	v_mul_f32_e32 v14, 0.5, v12
	s_mov_b32 s6, 0x800000
	v_cmp_gt_f32_e32 vcc, s6, v14
	v_cndmask_b32_e64 v15, 0, 32, vcc
	v_ldexp_f32 v14, v14, v15
	v_log_f32_e32 v14, v14
	v_add_f32_e32 v11, 0xbf090b37, v11
	v_sub_f32_e32 v11, v11, v13
	s_mov_b32 s6, 0x3f317217
	v_mul_f32_e32 v13, 0x3f317217, v14
	v_fma_f32 v13, v14, s6, -v13
	v_fmac_f32_e32 v13, 0x3377d1cf, v14
	s_mov_b32 s6, 0x7f800000
	v_fmac_f32_e32 v13, 0x3f317217, v14
	v_cmp_lt_f32_e64 s[6:7], |v14|, s6
	v_cndmask_b32_e64 v13, v14, v13, s[6:7]
	v_mul_f32_e32 v14, 0x3fb8aa3b, v12
	s_mov_b32 s6, 0x3fb8aa3b
	v_rndne_f32_e32 v15, v14
	v_sub_f32_e32 v16, v14, v15
	v_fma_f32 v14, v12, s6, -v14
	v_fmac_f32_e32 v14, 0x32a5705f, v12
	v_add_f32_e32 v14, v16, v14
	v_exp_f32_e32 v14, v14
	v_cvt_i32_f32_e32 v15, v15
	v_mov_b32_e32 v16, 0x41b17218
	s_mov_b32 s6, 0xc2ce8ed0
	v_cndmask_b32_e32 v16, 0, v16, vcc
	v_ldexp_f32 v14, v14, v15
	v_cmp_ngt_f32_e32 vcc, s6, v12
	s_mov_b32 s6, 0x42b17218
	v_cndmask_b32_e32 v14, 0, v14, vcc
	v_mov_b32_e32 v15, 0x7f800000
	v_cmp_nlt_f32_e32 vcc, s6, v12
	v_cndmask_b32_e32 v14, v15, v14, vcc
	v_fma_f32 v12, v12, 0.5, -2.0
	v_mov_b32_e32 v15, 0x24199b15
	v_sub_f32_e32 v13, v13, v16
	v_fmac_f32_e32 v15, 0xa2a2e5b9, v12
	v_mov_b32_e32 v16, 0x22a2e5b9
	v_fmac_f32_e32 v16, v12, v15
	v_add_f32_e32 v16, 0xa58c275c, v16
	v_fma_f32 v15, v12, v16, -v15
	v_add_f32_e32 v15, 0x26f736c5, v15
	v_fma_f32 v16, v12, v15, -v16
	;; [unrolled: 2-line block ×27, first 2 shown]
	v_add_f32_e32 v12, 0x3f2d4275, v12
	v_sub_f32_e32 v12, v12, v15
	v_mul_f32_e32 v12, 0.5, v12
	v_mul_f32_e32 v12, v14, v12
	v_mul_f32_e32 v12, v13, v12
	v_fma_f32 v11, v11, 0.5, -v12
	v_mul_f32_e32 v11, v14, v11
                                        ; implicit-def: $vgpr12
.LBB10_23:
	s_andn2_saveexec_b64 s[14:15], s[14:15]
	s_cbranch_execz .LBB10_25
; %bb.24:
	s_mov_b32 s17, 0x41000000
	v_div_scale_f32 v11, s[6:7], v12, v12, s17
	v_div_scale_f32 v13, vcc, s17, v12, s17
	s_mov_b32 s6, 0xf800000
	v_mul_f32_e32 v14, 0x4f800000, v12
	v_cmp_gt_f32_e64 s[6:7], s6, v12
	v_cndmask_b32_e64 v14, v12, v14, s[6:7]
	v_sqrt_f32_e32 v16, v14
	v_add_u32_e32 v19, 1, v16
	v_fma_f32 v21, -v19, v16, v14
	v_rcp_f32_e32 v15, v11
	v_fma_f32 v17, -v11, v15, 1.0
	v_fmac_f32_e32 v15, v17, v15
	v_mul_f32_e32 v17, v13, v15
	v_fma_f32 v18, -v11, v17, v13
	v_fmac_f32_e32 v17, v18, v15
	v_fma_f32 v11, -v11, v17, v13
	v_div_fmas_f32 v11, v11, v15, v17
	v_mov_b32_e32 v13, 0xa397f665
	v_mov_b32_e32 v15, 0xa2c38d2e
	v_add_u32_e32 v18, -1, v16
	v_fma_f32 v20, -v18, v16, v14
	v_cmp_ge_f32_e32 vcc, 0, v20
	v_cndmask_b32_e32 v16, v16, v18, vcc
	v_cmp_lt_f32_e32 vcc, 0, v21
	v_cndmask_b32_e32 v16, v16, v19, vcc
	v_mov_b32_e32 v17, 0x260
	v_mul_f32_e32 v18, 0x37800000, v16
	v_cndmask_b32_e64 v16, v16, v18, s[6:7]
	v_cmp_class_f32_e32 vcc, v14, v17
	v_cndmask_b32_e32 v14, v16, v14, vcc
	v_div_fixup_f32 v11, v11, v12, s17
	v_add_f32_e32 v11, -2.0, v11
	v_fmac_f32_e32 v13, 0x22c38d2e, v11
	v_fmac_f32_e32 v15, v11, v13
	v_add_f32_e32 v12, 0x24704972, v15
	v_fma_f32 v13, v11, v12, -v13
	v_add_f32_e32 v13, 0xa5417ca4, v13
	v_fma_f32 v12, v11, v13, -v12
	v_add_f32_e32 v12, 0x261edfcb, v12
	v_fma_f32 v13, v11, v12, -v13
	v_add_f32_e32 v13, 0xa7053487, v13
	v_fma_f32 v12, v11, v13, -v12
	v_add_f32_e32 v12, 0x27e46ce2, v12
	v_fma_f32 v13, v11, v12, -v13
	v_add_f32_e32 v13, 0xa8c8a2f6, v13
	v_fma_f32 v12, v11, v13, -v12
	v_add_f32_e32 v12, 0x29b4e276, v12
	v_fma_f32 v13, v11, v12, -v13
	v_add_f32_e32 v13, 0xaaa7c3b9, v13
	v_fma_f32 v12, v11, v13, -v12
	v_add_f32_e32 v12, 0x2ba07d19, v12
	v_fma_f32 v13, v11, v12, -v13
	v_add_f32_e32 v13, 0xac9ed7e2, v13
	v_fma_f32 v12, v11, v13, -v12
	v_add_f32_e32 v12, 0x2da34042, v12
	v_fma_f32 v13, v11, v12, -v13
	v_add_f32_e32 v13, 0xaeaefcaf, v13
	v_fma_f32 v12, v11, v13, -v12
	v_add_f32_e32 v12, 0x2fc4ab64, v12
	v_fma_f32 v13, v11, v12, -v13
	v_add_f32_e32 v13, 0xb0e94eb0, v13
	v_fma_f32 v12, v11, v13, -v12
	v_add_f32_e32 v12, 0x32134d00, v12
	v_fma_f32 v13, v11, v12, -v13
	v_add_f32_e32 v13, 0xb3482aa1, v13
	v_fma_f32 v12, v11, v13, -v12
	v_add_f32_e32 v12, 0x34948acc, v12
	v_fma_f32 v13, v11, v12, -v13
	v_add_f32_e32 v13, 0xb5f5daa4, v13
	v_fma_f32 v12, v11, v13, -v12
	v_add_f32_e32 v12, 0x376a09fe, v12
	v_fma_f32 v13, v11, v12, -v13
	v_add_f32_e32 v13, 0xb906bcbf, v13
	v_fma_f32 v12, v11, v13, -v12
	v_add_f32_e32 v12, 0x3acdc490, v12
	v_fma_f32 v13, v11, v12, -v13
	v_add_f32_e32 v13, 0xbd00cfb9, v13
	v_fma_f32 v11, v11, v13, -v12
	v_add_f32_e32 v11, 0x401c2ded, v11
	v_sub_f32_e32 v11, v11, v12
	v_mul_f32_e32 v11, 0.5, v11
	v_div_scale_f32 v12, s[6:7], v14, v14, v11
	v_div_scale_f32 v13, vcc, v11, v14, v11
	v_rcp_f32_e32 v15, v12
	v_fma_f32 v16, -v12, v15, 1.0
	v_fmac_f32_e32 v15, v16, v15
	v_mul_f32_e32 v16, v13, v15
	v_fma_f32 v17, -v12, v16, v13
	v_fmac_f32_e32 v16, v17, v15
	v_fma_f32 v12, -v12, v16, v13
	v_div_fmas_f32 v12, v12, v15, v16
	v_div_fixup_f32 v11, v12, v14, v11
.LBB10_25:
	s_or_b64 exec, exec, s[14:15]
.LBB10_26:
	s_or_b64 exec, exec, s[12:13]
.LBB10_27:
	s_or_b64 exec, exec, s[10:11]
.LBB10_28:
	s_or_b64 exec, exec, s[8:9]
	s_waitcnt vmcnt(0) lgkmcnt(0)
	v_add_u32_e32 v12, 0x200, v7
	v_cmp_lt_i32_e32 vcc, v12, v4
	s_and_saveexec_b64 s[8:9], vcc
	s_cbranch_execz .LBB10_38
; %bb.29:
	v_cmp_neq_f32_e32 vcc, 0, v8
	v_mov_b32_e32 v10, 0x7f800000
	s_and_saveexec_b64 s[10:11], vcc
	s_cbranch_execz .LBB10_37
; %bb.30:
	v_cmp_ngt_f32_e32 vcc, 0, v8
	v_mov_b32_e32 v10, 0x7fc00000
	s_and_saveexec_b64 s[12:13], vcc
	s_cbranch_execz .LBB10_36
; %bb.31:
	v_cmp_ge_f32_e32 vcc, 2.0, v8
	s_and_saveexec_b64 s[6:7], vcc
	s_xor_b64 s[14:15], exec, s[6:7]
                                        ; implicit-def: $vgpr10
	s_cbranch_execz .LBB10_33
; %bb.32:
	v_fma_f32 v10, v8, v8, -2.0
	v_mov_b32_e32 v12, 0x293fd856
	v_fmac_f32_e32 v12, 0x251e770f, v10
	v_mov_b32_e32 v13, 0xa51e770f
	v_fmac_f32_e32 v13, v10, v12
	v_add_f32_e32 v13, 0x2d3612e2, v13
	v_fma_f32 v12, v10, v13, -v12
	v_add_f32_e32 v12, 0x3102e09b, v12
	v_fma_f32 v13, v10, v12, -v13
	;; [unrolled: 2-line block ×7, first 2 shown]
	v_mul_f32_e32 v13, 0.5, v8
	s_mov_b32 s6, 0x800000
	v_cmp_gt_f32_e32 vcc, s6, v13
	v_cndmask_b32_e64 v14, 0, 32, vcc
	v_ldexp_f32 v13, v13, v14
	v_log_f32_e32 v13, v13
	v_add_f32_e32 v10, 0xbf090b37, v10
	v_sub_f32_e32 v10, v10, v12
	s_mov_b32 s6, 0x3f317217
	v_mul_f32_e32 v12, 0x3f317217, v13
	v_fma_f32 v12, v13, s6, -v12
	v_fmac_f32_e32 v12, 0x3377d1cf, v13
	s_mov_b32 s6, 0x7f800000
	v_fmac_f32_e32 v12, 0x3f317217, v13
	v_cmp_lt_f32_e64 s[6:7], |v13|, s6
	v_cndmask_b32_e64 v12, v13, v12, s[6:7]
	v_mul_f32_e32 v13, 0x3fb8aa3b, v8
	s_mov_b32 s6, 0x3fb8aa3b
	v_rndne_f32_e32 v14, v13
	v_sub_f32_e32 v15, v13, v14
	v_fma_f32 v13, v8, s6, -v13
	v_fmac_f32_e32 v13, 0x32a5705f, v8
	v_add_f32_e32 v13, v15, v13
	v_exp_f32_e32 v13, v13
	v_cvt_i32_f32_e32 v14, v14
	v_mov_b32_e32 v15, 0x41b17218
	s_mov_b32 s6, 0xc2ce8ed0
	v_cndmask_b32_e32 v15, 0, v15, vcc
	v_ldexp_f32 v13, v13, v14
	v_cmp_ngt_f32_e32 vcc, s6, v8
	s_mov_b32 s6, 0x42b17218
	v_cndmask_b32_e32 v13, 0, v13, vcc
	v_mov_b32_e32 v14, 0x7f800000
	v_cmp_nlt_f32_e32 vcc, s6, v8
	v_cndmask_b32_e32 v13, v14, v13, vcc
	v_fma_f32 v8, v8, 0.5, -2.0
	v_mov_b32_e32 v14, 0x24199b15
	v_sub_f32_e32 v12, v12, v15
	v_fmac_f32_e32 v14, 0xa2a2e5b9, v8
	v_mov_b32_e32 v15, 0x22a2e5b9
	v_fmac_f32_e32 v15, v8, v14
	v_add_f32_e32 v15, 0xa58c275c, v15
	v_fma_f32 v14, v8, v15, -v14
	v_add_f32_e32 v14, 0x26f736c5, v14
	v_fma_f32 v15, v8, v14, -v15
	;; [unrolled: 2-line block ×27, first 2 shown]
	v_add_f32_e32 v8, 0x3f2d4275, v8
	v_sub_f32_e32 v8, v8, v14
	v_mul_f32_e32 v8, 0.5, v8
	v_mul_f32_e32 v8, v13, v8
	v_mul_f32_e32 v8, v12, v8
	v_fma_f32 v8, v10, 0.5, -v8
	v_mul_f32_e32 v10, v13, v8
                                        ; implicit-def: $vgpr8
.LBB10_33:
	s_andn2_saveexec_b64 s[14:15], s[14:15]
	s_cbranch_execz .LBB10_35
; %bb.34:
	s_mov_b32 s17, 0x41000000
	v_div_scale_f32 v10, s[6:7], v8, v8, s17
	v_div_scale_f32 v12, vcc, s17, v8, s17
	s_mov_b32 s6, 0xf800000
	v_mul_f32_e32 v13, 0x4f800000, v8
	v_cmp_gt_f32_e64 s[6:7], s6, v8
	v_cndmask_b32_e64 v13, v8, v13, s[6:7]
	v_sqrt_f32_e32 v15, v13
	v_add_u32_e32 v18, 1, v15
	v_fma_f32 v20, -v18, v15, v13
	v_rcp_f32_e32 v14, v10
	v_fma_f32 v16, -v10, v14, 1.0
	v_fmac_f32_e32 v14, v16, v14
	v_mul_f32_e32 v16, v12, v14
	v_fma_f32 v17, -v10, v16, v12
	v_fmac_f32_e32 v16, v17, v14
	v_fma_f32 v10, -v10, v16, v12
	v_div_fmas_f32 v10, v10, v14, v16
	v_mov_b32_e32 v12, 0xa397f665
	v_mov_b32_e32 v14, 0xa2c38d2e
	v_add_u32_e32 v17, -1, v15
	v_fma_f32 v19, -v17, v15, v13
	v_cmp_ge_f32_e32 vcc, 0, v19
	v_cndmask_b32_e32 v15, v15, v17, vcc
	v_cmp_lt_f32_e32 vcc, 0, v20
	v_cndmask_b32_e32 v15, v15, v18, vcc
	v_mov_b32_e32 v16, 0x260
	v_mul_f32_e32 v17, 0x37800000, v15
	v_cndmask_b32_e64 v15, v15, v17, s[6:7]
	v_cmp_class_f32_e32 vcc, v13, v16
	v_cndmask_b32_e32 v13, v15, v13, vcc
	v_div_fixup_f32 v8, v10, v8, s17
	v_add_f32_e32 v8, -2.0, v8
	v_fmac_f32_e32 v12, 0x22c38d2e, v8
	v_fmac_f32_e32 v14, v8, v12
	v_add_f32_e32 v10, 0x24704972, v14
	v_fma_f32 v12, v8, v10, -v12
	v_add_f32_e32 v12, 0xa5417ca4, v12
	v_fma_f32 v10, v8, v12, -v10
	;; [unrolled: 2-line block ×22, first 2 shown]
	v_add_f32_e32 v8, 0x401c2ded, v8
	v_sub_f32_e32 v8, v8, v10
	v_mul_f32_e32 v8, 0.5, v8
	v_div_scale_f32 v10, s[6:7], v13, v13, v8
	v_div_scale_f32 v12, vcc, v8, v13, v8
	v_rcp_f32_e32 v14, v10
	v_fma_f32 v15, -v10, v14, 1.0
	v_fmac_f32_e32 v14, v15, v14
	v_mul_f32_e32 v15, v12, v14
	v_fma_f32 v16, -v10, v15, v12
	v_fmac_f32_e32 v15, v16, v14
	v_fma_f32 v10, -v10, v15, v12
	v_div_fmas_f32 v10, v10, v14, v15
	v_div_fixup_f32 v10, v10, v13, v8
.LBB10_35:
	s_or_b64 exec, exec, s[14:15]
.LBB10_36:
	s_or_b64 exec, exec, s[12:13]
.LBB10_37:
	s_or_b64 exec, exec, s[10:11]
.LBB10_38:
	s_or_b64 exec, exec, s[8:9]
	v_add_u32_e32 v8, 0x300, v7
	v_cmp_lt_i32_e32 vcc, v8, v4
	s_and_saveexec_b64 s[8:9], vcc
	s_cbranch_execnz .LBB10_44
; %bb.39:
	s_or_b64 exec, exec, s[8:9]
	s_and_saveexec_b64 s[6:7], s[4:5]
	s_xor_b64 s[4:5], exec, s[6:7]
	s_cbranch_execnz .LBB10_53
.LBB10_40:
	s_or_b64 exec, exec, s[4:5]
	v_cmp_lt_i32_e32 vcc, v7, v4
	s_and_saveexec_b64 s[4:5], vcc
	s_cbranch_execnz .LBB10_54
.LBB10_41:
	s_or_b64 exec, exec, s[4:5]
	v_cmp_lt_i32_e32 vcc, v7, v4
	s_and_saveexec_b64 s[4:5], vcc
	s_cbranch_execnz .LBB10_55
.LBB10_42:
	s_or_b64 exec, exec, s[4:5]
	v_cmp_lt_i32_e32 vcc, v7, v4
	s_and_saveexec_b64 s[4:5], vcc
	s_cbranch_execnz .LBB10_56
.LBB10_43:
	s_or_b64 exec, exec, s[4:5]
	s_waitcnt vmcnt(0) lgkmcnt(0)
	s_setpc_b64 s[30:31]
.LBB10_44:
	v_cmp_neq_f32_e32 vcc, 0, v6
	v_mov_b32_e32 v9, 0x7f800000
	s_and_saveexec_b64 s[10:11], vcc
	s_cbranch_execz .LBB10_52
; %bb.45:
	v_cmp_ngt_f32_e32 vcc, 0, v6
	v_mov_b32_e32 v9, 0x7fc00000
	s_and_saveexec_b64 s[12:13], vcc
	s_cbranch_execz .LBB10_51
; %bb.46:
	v_cmp_ge_f32_e32 vcc, 2.0, v6
	s_and_saveexec_b64 s[6:7], vcc
	s_xor_b64 s[14:15], exec, s[6:7]
                                        ; implicit-def: $vgpr9
	s_cbranch_execz .LBB10_48
; %bb.47:
	v_fma_f32 v8, v6, v6, -2.0
	v_mov_b32_e32 v9, 0x293fd856
	v_fmac_f32_e32 v9, 0x251e770f, v8
	v_mov_b32_e32 v12, 0xa51e770f
	v_fmac_f32_e32 v12, v8, v9
	v_add_f32_e32 v12, 0x2d3612e2, v12
	v_fma_f32 v9, v8, v12, -v9
	v_add_f32_e32 v9, 0x3102e09b, v9
	v_fma_f32 v12, v8, v9, -v12
	;; [unrolled: 2-line block ×7, first 2 shown]
	v_mul_f32_e32 v12, 0.5, v6
	s_mov_b32 s6, 0x800000
	v_cmp_gt_f32_e32 vcc, s6, v12
	v_cndmask_b32_e64 v13, 0, 32, vcc
	v_ldexp_f32 v12, v12, v13
	v_log_f32_e32 v12, v12
	v_add_f32_e32 v8, 0xbf090b37, v8
	v_sub_f32_e32 v8, v8, v9
	s_mov_b32 s6, 0x3f317217
	v_mul_f32_e32 v9, 0x3f317217, v12
	v_fma_f32 v9, v12, s6, -v9
	v_fmac_f32_e32 v9, 0x3377d1cf, v12
	s_mov_b32 s6, 0x7f800000
	v_fmac_f32_e32 v9, 0x3f317217, v12
	v_cmp_lt_f32_e64 s[6:7], |v12|, s6
	v_cndmask_b32_e64 v9, v12, v9, s[6:7]
	v_mul_f32_e32 v12, 0x3fb8aa3b, v6
	s_mov_b32 s6, 0x3fb8aa3b
	v_rndne_f32_e32 v13, v12
	v_sub_f32_e32 v14, v12, v13
	v_fma_f32 v12, v6, s6, -v12
	v_fmac_f32_e32 v12, 0x32a5705f, v6
	v_add_f32_e32 v12, v14, v12
	v_exp_f32_e32 v12, v12
	v_cvt_i32_f32_e32 v13, v13
	v_mov_b32_e32 v14, 0x41b17218
	s_mov_b32 s6, 0xc2ce8ed0
	v_cndmask_b32_e32 v14, 0, v14, vcc
	v_ldexp_f32 v12, v12, v13
	v_cmp_ngt_f32_e32 vcc, s6, v6
	s_mov_b32 s6, 0x42b17218
	v_cndmask_b32_e32 v12, 0, v12, vcc
	v_mov_b32_e32 v13, 0x7f800000
	v_cmp_nlt_f32_e32 vcc, s6, v6
	v_cndmask_b32_e32 v12, v13, v12, vcc
	v_fma_f32 v6, v6, 0.5, -2.0
	v_mov_b32_e32 v13, 0x24199b15
	v_sub_f32_e32 v9, v9, v14
	v_fmac_f32_e32 v13, 0xa2a2e5b9, v6
	v_mov_b32_e32 v14, 0x22a2e5b9
	v_fmac_f32_e32 v14, v6, v13
	v_add_f32_e32 v14, 0xa58c275c, v14
	v_fma_f32 v13, v6, v14, -v13
	v_add_f32_e32 v13, 0x26f736c5, v13
	v_fma_f32 v14, v6, v13, -v14
	;; [unrolled: 2-line block ×27, first 2 shown]
	v_add_f32_e32 v6, 0x3f2d4275, v6
	v_sub_f32_e32 v6, v6, v13
	v_mul_f32_e32 v6, 0.5, v6
	v_mul_f32_e32 v6, v12, v6
	v_mul_f32_e32 v6, v9, v6
	v_fma_f32 v6, v8, 0.5, -v6
	v_mul_f32_e32 v9, v12, v6
                                        ; implicit-def: $vgpr6
.LBB10_48:
	s_andn2_saveexec_b64 s[14:15], s[14:15]
	s_cbranch_execz .LBB10_50
; %bb.49:
	s_mov_b32 s17, 0x41000000
	v_div_scale_f32 v8, s[6:7], v6, v6, s17
	v_div_scale_f32 v9, vcc, s17, v6, s17
	s_mov_b32 s6, 0xf800000
	v_mul_f32_e32 v12, 0x4f800000, v6
	v_cmp_gt_f32_e64 s[6:7], s6, v6
	v_cndmask_b32_e64 v12, v6, v12, s[6:7]
	v_sqrt_f32_e32 v14, v12
	v_add_u32_e32 v17, 1, v14
	v_fma_f32 v19, -v17, v14, v12
	v_rcp_f32_e32 v13, v8
	v_fma_f32 v15, -v8, v13, 1.0
	v_fmac_f32_e32 v13, v15, v13
	v_mul_f32_e32 v15, v9, v13
	v_fma_f32 v16, -v8, v15, v9
	v_fmac_f32_e32 v15, v16, v13
	v_fma_f32 v8, -v8, v15, v9
	v_div_fmas_f32 v8, v8, v13, v15
	v_mov_b32_e32 v9, 0xa397f665
	v_mov_b32_e32 v13, 0xa2c38d2e
	v_add_u32_e32 v16, -1, v14
	v_fma_f32 v18, -v16, v14, v12
	v_cmp_ge_f32_e32 vcc, 0, v18
	v_cndmask_b32_e32 v14, v14, v16, vcc
	v_cmp_lt_f32_e32 vcc, 0, v19
	v_cndmask_b32_e32 v14, v14, v17, vcc
	v_mov_b32_e32 v15, 0x260
	v_mul_f32_e32 v16, 0x37800000, v14
	v_cndmask_b32_e64 v14, v14, v16, s[6:7]
	v_cmp_class_f32_e32 vcc, v12, v15
	v_cndmask_b32_e32 v12, v14, v12, vcc
	v_div_fixup_f32 v6, v8, v6, s17
	v_add_f32_e32 v6, -2.0, v6
	v_fmac_f32_e32 v9, 0x22c38d2e, v6
	v_fmac_f32_e32 v13, v6, v9
	v_add_f32_e32 v8, 0x24704972, v13
	v_fma_f32 v9, v6, v8, -v9
	v_add_f32_e32 v9, 0xa5417ca4, v9
	v_fma_f32 v8, v6, v9, -v8
	;; [unrolled: 2-line block ×22, first 2 shown]
	v_add_f32_e32 v6, 0x401c2ded, v6
	v_sub_f32_e32 v6, v6, v8
	v_mul_f32_e32 v6, 0.5, v6
	v_div_scale_f32 v8, s[6:7], v12, v12, v6
	v_div_scale_f32 v9, vcc, v6, v12, v6
	v_rcp_f32_e32 v13, v8
	v_fma_f32 v14, -v8, v13, 1.0
	v_fmac_f32_e32 v13, v14, v13
	v_mul_f32_e32 v14, v9, v13
	v_fma_f32 v15, -v8, v14, v9
	v_fmac_f32_e32 v14, v15, v13
	v_fma_f32 v8, -v8, v14, v9
	v_div_fmas_f32 v8, v8, v13, v14
	v_div_fixup_f32 v9, v8, v12, v6
.LBB10_50:
	s_or_b64 exec, exec, s[14:15]
.LBB10_51:
	s_or_b64 exec, exec, s[12:13]
.LBB10_52:
	s_or_b64 exec, exec, s[10:11]
	s_or_b64 exec, exec, s[8:9]
	s_and_saveexec_b64 s[6:7], s[4:5]
	s_xor_b64 s[4:5], exec, s[6:7]
	s_cbranch_execz .LBB10_40
.LBB10_53:
	v_mov_b32_e32 v6, 0
	v_lshlrev_b64 v[5:6], 2, v[5:6]
	v_mov_b32_e32 v7, v3
	v_add_co_u32_e32 v5, vcc, v0, v5
	v_addc_co_u32_e32 v6, vcc, v1, v6, vcc
	flat_store_dword v[5:6], v2
	s_or_b64 exec, exec, s[4:5]
	v_cmp_lt_i32_e32 vcc, v7, v4
	s_and_saveexec_b64 s[4:5], vcc
	s_cbranch_execz .LBB10_41
.LBB10_54:
	v_add_u32_e32 v2, s16, v7
	v_mov_b32_e32 v3, 0
	v_lshlrev_b64 v[2:3], 2, v[2:3]
	v_add_u32_e32 v7, 0x100, v7
	v_add_co_u32_e32 v2, vcc, v0, v2
	v_addc_co_u32_e32 v3, vcc, v1, v3, vcc
	flat_store_dword v[2:3], v11
	s_or_b64 exec, exec, s[4:5]
	v_cmp_lt_i32_e32 vcc, v7, v4
	s_and_saveexec_b64 s[4:5], vcc
	s_cbranch_execz .LBB10_42
.LBB10_55:
	v_add_u32_e32 v2, s16, v7
	v_mov_b32_e32 v3, 0
	v_lshlrev_b64 v[2:3], 2, v[2:3]
	v_add_u32_e32 v7, 0x100, v7
	v_add_co_u32_e32 v2, vcc, v0, v2
	v_addc_co_u32_e32 v3, vcc, v1, v3, vcc
	flat_store_dword v[2:3], v10
	s_or_b64 exec, exec, s[4:5]
	v_cmp_lt_i32_e32 vcc, v7, v4
	s_and_saveexec_b64 s[4:5], vcc
	s_cbranch_execz .LBB10_43
.LBB10_56:
	v_add_u32_e32 v2, s16, v7
	v_mov_b32_e32 v3, 0
	v_lshlrev_b64 v[2:3], 2, v[2:3]
	v_add_co_u32_e32 v0, vcc, v0, v2
	v_addc_co_u32_e32 v1, vcc, v1, v3, vcc
	flat_store_dword v[0:1], v9
	s_or_b64 exec, exec, s[4:5]
	s_waitcnt vmcnt(0) lgkmcnt(0)
	s_setpc_b64 s[30:31]
.Lfunc_end10:
	.size	_ZN2at6native25elementwise_kernel_helperILb0EZZZNS0_12_GLOBAL__N_137scaled_modified_bessel_k0_kernel_cudaERNS_18TensorIteratorBaseEENKUlvE_clEvENKUlvE0_clEvEUlfE_NS0_6memory8policies11unroll_baseILi256ESt5arrayIPcLm2EE23TrivialOffsetCalculatorILi1EjESF_NS8_15LoadWithoutCastENS8_16StoreWithoutCastELi4ELi1EEEEEvT0_T1_, .Lfunc_end10-_ZN2at6native25elementwise_kernel_helperILb0EZZZNS0_12_GLOBAL__N_137scaled_modified_bessel_k0_kernel_cudaERNS_18TensorIteratorBaseEENKUlvE_clEvENKUlvE0_clEvEUlfE_NS0_6memory8policies11unroll_baseILi256ESt5arrayIPcLm2EE23TrivialOffsetCalculatorILi1EjESF_NS8_15LoadWithoutCastENS8_16StoreWithoutCastELi4ELi1EEEEEvT0_T1_
                                        ; -- End function
	.set .L_ZN2at6native25elementwise_kernel_helperILb0EZZZNS0_12_GLOBAL__N_137scaled_modified_bessel_k0_kernel_cudaERNS_18TensorIteratorBaseEENKUlvE_clEvENKUlvE0_clEvEUlfE_NS0_6memory8policies11unroll_baseILi256ESt5arrayIPcLm2EE23TrivialOffsetCalculatorILi1EjESF_NS8_15LoadWithoutCastENS8_16StoreWithoutCastELi4ELi1EEEEEvT0_T1_.num_vgpr, 32
	.set .L_ZN2at6native25elementwise_kernel_helperILb0EZZZNS0_12_GLOBAL__N_137scaled_modified_bessel_k0_kernel_cudaERNS_18TensorIteratorBaseEENKUlvE_clEvENKUlvE0_clEvEUlfE_NS0_6memory8policies11unroll_baseILi256ESt5arrayIPcLm2EE23TrivialOffsetCalculatorILi1EjESF_NS8_15LoadWithoutCastENS8_16StoreWithoutCastELi4ELi1EEEEEvT0_T1_.num_agpr, 0
	.set .L_ZN2at6native25elementwise_kernel_helperILb0EZZZNS0_12_GLOBAL__N_137scaled_modified_bessel_k0_kernel_cudaERNS_18TensorIteratorBaseEENKUlvE_clEvENKUlvE0_clEvEUlfE_NS0_6memory8policies11unroll_baseILi256ESt5arrayIPcLm2EE23TrivialOffsetCalculatorILi1EjESF_NS8_15LoadWithoutCastENS8_16StoreWithoutCastELi4ELi1EEEEEvT0_T1_.numbered_sgpr, 32
	.set .L_ZN2at6native25elementwise_kernel_helperILb0EZZZNS0_12_GLOBAL__N_137scaled_modified_bessel_k0_kernel_cudaERNS_18TensorIteratorBaseEENKUlvE_clEvENKUlvE0_clEvEUlfE_NS0_6memory8policies11unroll_baseILi256ESt5arrayIPcLm2EE23TrivialOffsetCalculatorILi1EjESF_NS8_15LoadWithoutCastENS8_16StoreWithoutCastELi4ELi1EEEEEvT0_T1_.num_named_barrier, 0
	.set .L_ZN2at6native25elementwise_kernel_helperILb0EZZZNS0_12_GLOBAL__N_137scaled_modified_bessel_k0_kernel_cudaERNS_18TensorIteratorBaseEENKUlvE_clEvENKUlvE0_clEvEUlfE_NS0_6memory8policies11unroll_baseILi256ESt5arrayIPcLm2EE23TrivialOffsetCalculatorILi1EjESF_NS8_15LoadWithoutCastENS8_16StoreWithoutCastELi4ELi1EEEEEvT0_T1_.private_seg_size, 0
	.set .L_ZN2at6native25elementwise_kernel_helperILb0EZZZNS0_12_GLOBAL__N_137scaled_modified_bessel_k0_kernel_cudaERNS_18TensorIteratorBaseEENKUlvE_clEvENKUlvE0_clEvEUlfE_NS0_6memory8policies11unroll_baseILi256ESt5arrayIPcLm2EE23TrivialOffsetCalculatorILi1EjESF_NS8_15LoadWithoutCastENS8_16StoreWithoutCastELi4ELi1EEEEEvT0_T1_.uses_vcc, 1
	.set .L_ZN2at6native25elementwise_kernel_helperILb0EZZZNS0_12_GLOBAL__N_137scaled_modified_bessel_k0_kernel_cudaERNS_18TensorIteratorBaseEENKUlvE_clEvENKUlvE0_clEvEUlfE_NS0_6memory8policies11unroll_baseILi256ESt5arrayIPcLm2EE23TrivialOffsetCalculatorILi1EjESF_NS8_15LoadWithoutCastENS8_16StoreWithoutCastELi4ELi1EEEEEvT0_T1_.uses_flat_scratch, 0
	.set .L_ZN2at6native25elementwise_kernel_helperILb0EZZZNS0_12_GLOBAL__N_137scaled_modified_bessel_k0_kernel_cudaERNS_18TensorIteratorBaseEENKUlvE_clEvENKUlvE0_clEvEUlfE_NS0_6memory8policies11unroll_baseILi256ESt5arrayIPcLm2EE23TrivialOffsetCalculatorILi1EjESF_NS8_15LoadWithoutCastENS8_16StoreWithoutCastELi4ELi1EEEEEvT0_T1_.has_dyn_sized_stack, 0
	.set .L_ZN2at6native25elementwise_kernel_helperILb0EZZZNS0_12_GLOBAL__N_137scaled_modified_bessel_k0_kernel_cudaERNS_18TensorIteratorBaseEENKUlvE_clEvENKUlvE0_clEvEUlfE_NS0_6memory8policies11unroll_baseILi256ESt5arrayIPcLm2EE23TrivialOffsetCalculatorILi1EjESF_NS8_15LoadWithoutCastENS8_16StoreWithoutCastELi4ELi1EEEEEvT0_T1_.has_recursion, 0
	.set .L_ZN2at6native25elementwise_kernel_helperILb0EZZZNS0_12_GLOBAL__N_137scaled_modified_bessel_k0_kernel_cudaERNS_18TensorIteratorBaseEENKUlvE_clEvENKUlvE0_clEvEUlfE_NS0_6memory8policies11unroll_baseILi256ESt5arrayIPcLm2EE23TrivialOffsetCalculatorILi1EjESF_NS8_15LoadWithoutCastENS8_16StoreWithoutCastELi4ELi1EEEEEvT0_T1_.has_indirect_call, 0
	.section	.AMDGPU.csdata,"",@progbits
; Function info:
; codeLenInByte = 7136
; TotalNumSgprs: 36
; NumVgprs: 32
; ScratchSize: 0
; MemoryBound: 0
	.text
	.p2align	2                               ; -- Begin function _ZN2at6native25elementwise_kernel_helperILb0EZZZNS0_12_GLOBAL__N_137scaled_modified_bessel_k0_kernel_cudaERNS_18TensorIteratorBaseEENKUlvE_clEvENKUlvE0_clEvEUlfE_NS0_6memory8policies10vectorizedILi4ESt5arrayIPcLm2EELi4EEEEEvT0_T1_
	.type	_ZN2at6native25elementwise_kernel_helperILb0EZZZNS0_12_GLOBAL__N_137scaled_modified_bessel_k0_kernel_cudaERNS_18TensorIteratorBaseEENKUlvE_clEvENKUlvE0_clEvEUlfE_NS0_6memory8policies10vectorizedILi4ESt5arrayIPcLm2EELi4EEEEEvT0_T1_,@function
_ZN2at6native25elementwise_kernel_helperILb0EZZZNS0_12_GLOBAL__N_137scaled_modified_bessel_k0_kernel_cudaERNS_18TensorIteratorBaseEENKUlvE_clEvENKUlvE0_clEvEUlfE_NS0_6memory8policies10vectorizedILi4ESt5arrayIPcLm2EELi4EEEEEvT0_T1_: ; @_ZN2at6native25elementwise_kernel_helperILb0EZZZNS0_12_GLOBAL__N_137scaled_modified_bessel_k0_kernel_cudaERNS_18TensorIteratorBaseEENKUlvE_clEvENKUlvE0_clEvEUlfE_NS0_6memory8policies10vectorizedILi4ESt5arrayIPcLm2EELi4EEEEEvT0_T1_
; %bb.0:
	s_waitcnt vmcnt(0) expcnt(0) lgkmcnt(0)
	s_lshl_b32 s4, s12, 10
	s_ashr_i32 s5, s4, 31
	s_lshl_b64 s[6:7], s[4:5], 2
	v_mov_b32_e32 v4, s7
	v_add_co_u32_e32 v2, vcc, s6, v2
	v_addc_co_u32_e32 v3, vcc, v3, v4, vcc
	v_and_b32_e32 v4, 0x3ff, v31
	v_lshlrev_b32_e32 v10, 4, v4
	v_add_co_u32_e32 v2, vcc, v2, v10
	v_addc_co_u32_e32 v3, vcc, 0, v3, vcc
	flat_load_dwordx4 v[6:9], v[2:3]
	v_mov_b32_e32 v3, 0x7f800000
	v_mov_b32_e32 v2, 0x7f800000
	s_waitcnt vmcnt(0) lgkmcnt(0)
	v_cmp_neq_f32_e32 vcc, 0, v6
	s_and_saveexec_b64 s[8:9], vcc
	s_cbranch_execz .LBB11_8
; %bb.1:
	v_cmp_ngt_f32_e32 vcc, 0, v6
	v_mov_b32_e32 v2, 0x7fc00000
	s_and_saveexec_b64 s[10:11], vcc
	s_cbranch_execz .LBB11_7
; %bb.2:
	v_cmp_ge_f32_e32 vcc, 2.0, v6
	s_and_saveexec_b64 s[4:5], vcc
	s_xor_b64 s[12:13], exec, s[4:5]
	s_cbranch_execz .LBB11_4
; %bb.3:
	v_fma_f32 v2, v6, v6, -2.0
	v_mov_b32_e32 v4, 0x293fd856
	v_fmac_f32_e32 v4, 0x251e770f, v2
	v_mov_b32_e32 v5, 0xa51e770f
	v_fmac_f32_e32 v5, v2, v4
	v_add_f32_e32 v5, 0x2d3612e2, v5
	v_fma_f32 v4, v2, v5, -v4
	v_add_f32_e32 v4, 0x3102e09b, v4
	v_fma_f32 v5, v2, v4, -v5
	;; [unrolled: 2-line block ×7, first 2 shown]
	v_mul_f32_e32 v5, 0.5, v6
	s_mov_b32 s4, 0x800000
	v_cmp_gt_f32_e32 vcc, s4, v5
	v_cndmask_b32_e64 v11, 0, 32, vcc
	v_ldexp_f32 v5, v5, v11
	v_log_f32_e32 v5, v5
	v_add_f32_e32 v2, 0xbf090b37, v2
	v_sub_f32_e32 v2, v2, v4
	s_mov_b32 s4, 0x3f317217
	v_mul_f32_e32 v4, 0x3f317217, v5
	v_fma_f32 v4, v5, s4, -v4
	v_fmac_f32_e32 v4, 0x3377d1cf, v5
	s_mov_b32 s4, 0x7f800000
	v_fmac_f32_e32 v4, 0x3f317217, v5
	v_cmp_lt_f32_e64 s[4:5], |v5|, s4
	v_cndmask_b32_e64 v4, v5, v4, s[4:5]
	v_mul_f32_e32 v5, 0x3fb8aa3b, v6
	s_mov_b32 s4, 0x3fb8aa3b
	v_rndne_f32_e32 v11, v5
	v_sub_f32_e32 v12, v5, v11
	v_fma_f32 v5, v6, s4, -v5
	v_fmac_f32_e32 v5, 0x32a5705f, v6
	v_add_f32_e32 v5, v12, v5
	v_exp_f32_e32 v5, v5
	v_cvt_i32_f32_e32 v11, v11
	v_mov_b32_e32 v12, 0x41b17218
	s_mov_b32 s4, 0xc2ce8ed0
	v_cndmask_b32_e32 v12, 0, v12, vcc
	v_ldexp_f32 v5, v5, v11
	v_cmp_ngt_f32_e32 vcc, s4, v6
	s_mov_b32 s4, 0x42b17218
	v_cndmask_b32_e32 v5, 0, v5, vcc
	v_mov_b32_e32 v11, 0x7f800000
	v_cmp_nlt_f32_e32 vcc, s4, v6
	v_sub_f32_e32 v4, v4, v12
	v_cndmask_b32_e32 v5, v11, v5, vcc
	v_fma_f32 v11, v6, 0.5, -2.0
	v_mov_b32_e32 v12, 0x24199b15
	v_fmac_f32_e32 v12, 0xa2a2e5b9, v11
	v_mov_b32_e32 v13, 0x22a2e5b9
	v_fmac_f32_e32 v13, v11, v12
	v_add_f32_e32 v13, 0xa58c275c, v13
	v_fma_f32 v12, v11, v13, -v12
	v_add_f32_e32 v12, 0x26f736c5, v12
	v_fma_f32 v13, v11, v12, -v13
	;; [unrolled: 2-line block ×27, first 2 shown]
	v_add_f32_e32 v11, 0x3f2d4275, v11
	v_sub_f32_e32 v11, v11, v12
	v_mul_f32_e32 v11, 0.5, v11
	v_mul_f32_e32 v11, v5, v11
	v_mul_f32_e32 v4, v4, v11
	v_fma_f32 v2, v2, 0.5, -v4
	v_mul_f32_e32 v2, v5, v2
.LBB11_4:
	s_andn2_saveexec_b64 s[12:13], s[12:13]
	s_cbranch_execz .LBB11_6
; %bb.5:
	s_mov_b32 s14, 0x41000000
	v_div_scale_f32 v2, s[4:5], v6, v6, s14
	v_div_scale_f32 v4, vcc, s14, v6, s14
	s_mov_b32 s4, 0xf800000
	v_mul_f32_e32 v5, 0x4f800000, v6
	v_cmp_gt_f32_e64 s[4:5], s4, v6
	v_cndmask_b32_e64 v5, v6, v5, s[4:5]
	v_sqrt_f32_e32 v12, v5
	v_add_u32_e32 v15, 1, v12
	v_fma_f32 v17, -v15, v12, v5
	v_rcp_f32_e32 v11, v2
	v_fma_f32 v13, -v2, v11, 1.0
	v_fmac_f32_e32 v11, v13, v11
	v_mul_f32_e32 v13, v4, v11
	v_fma_f32 v14, -v2, v13, v4
	v_fmac_f32_e32 v13, v14, v11
	v_fma_f32 v2, -v2, v13, v4
	v_div_fmas_f32 v2, v2, v11, v13
	v_mov_b32_e32 v4, 0xa397f665
	v_mov_b32_e32 v11, 0xa2c38d2e
	v_add_u32_e32 v14, -1, v12
	v_fma_f32 v16, -v14, v12, v5
	v_cmp_ge_f32_e32 vcc, 0, v16
	v_cndmask_b32_e32 v12, v12, v14, vcc
	v_cmp_lt_f32_e32 vcc, 0, v17
	v_cndmask_b32_e32 v12, v12, v15, vcc
	v_mov_b32_e32 v13, 0x260
	v_mul_f32_e32 v14, 0x37800000, v12
	v_cndmask_b32_e64 v12, v12, v14, s[4:5]
	v_cmp_class_f32_e32 vcc, v5, v13
	v_cndmask_b32_e32 v5, v12, v5, vcc
	v_div_fixup_f32 v2, v2, v6, s14
	v_add_f32_e32 v2, -2.0, v2
	v_fmac_f32_e32 v4, 0x22c38d2e, v2
	v_fmac_f32_e32 v11, v2, v4
	v_add_f32_e32 v6, 0x24704972, v11
	v_fma_f32 v4, v2, v6, -v4
	v_add_f32_e32 v4, 0xa5417ca4, v4
	v_fma_f32 v6, v2, v4, -v6
	v_add_f32_e32 v6, 0x261edfcb, v6
	v_fma_f32 v4, v2, v6, -v4
	v_add_f32_e32 v4, 0xa7053487, v4
	v_fma_f32 v6, v2, v4, -v6
	v_add_f32_e32 v6, 0x27e46ce2, v6
	v_fma_f32 v4, v2, v6, -v4
	v_add_f32_e32 v4, 0xa8c8a2f6, v4
	v_fma_f32 v6, v2, v4, -v6
	v_add_f32_e32 v6, 0x29b4e276, v6
	v_fma_f32 v4, v2, v6, -v4
	v_add_f32_e32 v4, 0xaaa7c3b9, v4
	v_fma_f32 v6, v2, v4, -v6
	v_add_f32_e32 v6, 0x2ba07d19, v6
	v_fma_f32 v4, v2, v6, -v4
	v_add_f32_e32 v4, 0xac9ed7e2, v4
	v_fma_f32 v6, v2, v4, -v6
	v_add_f32_e32 v6, 0x2da34042, v6
	v_fma_f32 v4, v2, v6, -v4
	v_add_f32_e32 v4, 0xaeaefcaf, v4
	v_fma_f32 v6, v2, v4, -v6
	v_add_f32_e32 v6, 0x2fc4ab64, v6
	v_fma_f32 v4, v2, v6, -v4
	v_add_f32_e32 v4, 0xb0e94eb0, v4
	v_fma_f32 v6, v2, v4, -v6
	v_add_f32_e32 v6, 0x32134d00, v6
	v_fma_f32 v4, v2, v6, -v4
	v_add_f32_e32 v4, 0xb3482aa1, v4
	v_fma_f32 v6, v2, v4, -v6
	v_add_f32_e32 v6, 0x34948acc, v6
	v_fma_f32 v4, v2, v6, -v4
	v_add_f32_e32 v4, 0xb5f5daa4, v4
	v_fma_f32 v6, v2, v4, -v6
	v_add_f32_e32 v6, 0x376a09fe, v6
	v_fma_f32 v4, v2, v6, -v4
	v_add_f32_e32 v4, 0xb906bcbf, v4
	v_fma_f32 v6, v2, v4, -v6
	v_add_f32_e32 v6, 0x3acdc490, v6
	v_fma_f32 v4, v2, v6, -v4
	v_add_f32_e32 v4, 0xbd00cfb9, v4
	v_fma_f32 v2, v2, v4, -v6
	v_add_f32_e32 v2, 0x401c2ded, v2
	v_sub_f32_e32 v2, v2, v6
	v_mul_f32_e32 v2, 0.5, v2
	v_div_scale_f32 v4, s[4:5], v5, v5, v2
	v_div_scale_f32 v6, vcc, v2, v5, v2
	v_rcp_f32_e32 v11, v4
	v_fma_f32 v12, -v4, v11, 1.0
	v_fmac_f32_e32 v11, v12, v11
	v_mul_f32_e32 v12, v6, v11
	v_fma_f32 v13, -v4, v12, v6
	v_fmac_f32_e32 v12, v13, v11
	v_fma_f32 v4, -v4, v12, v6
	v_div_fmas_f32 v4, v4, v11, v12
	v_div_fixup_f32 v2, v4, v5, v2
.LBB11_6:
	s_or_b64 exec, exec, s[12:13]
.LBB11_7:
	s_or_b64 exec, exec, s[10:11]
.LBB11_8:
	s_or_b64 exec, exec, s[8:9]
	v_cmp_neq_f32_e32 vcc, 0, v7
	s_and_saveexec_b64 s[8:9], vcc
	s_cbranch_execz .LBB11_16
; %bb.9:
	v_cmp_ngt_f32_e32 vcc, 0, v7
	v_mov_b32_e32 v3, 0x7fc00000
	s_and_saveexec_b64 s[10:11], vcc
	s_cbranch_execz .LBB11_15
; %bb.10:
	v_cmp_ge_f32_e32 vcc, 2.0, v7
	s_and_saveexec_b64 s[4:5], vcc
	s_xor_b64 s[12:13], exec, s[4:5]
	s_cbranch_execz .LBB11_12
; %bb.11:
	v_fma_f32 v3, v7, v7, -2.0
	v_mov_b32_e32 v4, 0x293fd856
	v_fmac_f32_e32 v4, 0x251e770f, v3
	v_mov_b32_e32 v5, 0xa51e770f
	v_fmac_f32_e32 v5, v3, v4
	v_add_f32_e32 v5, 0x2d3612e2, v5
	v_fma_f32 v4, v3, v5, -v4
	v_add_f32_e32 v4, 0x3102e09b, v4
	v_fma_f32 v5, v3, v4, -v5
	;; [unrolled: 2-line block ×7, first 2 shown]
	v_mul_f32_e32 v5, 0.5, v7
	s_mov_b32 s4, 0x800000
	v_cmp_gt_f32_e32 vcc, s4, v5
	v_cndmask_b32_e64 v6, 0, 32, vcc
	v_ldexp_f32 v5, v5, v6
	v_log_f32_e32 v5, v5
	v_add_f32_e32 v3, 0xbf090b37, v3
	v_sub_f32_e32 v3, v3, v4
	s_mov_b32 s4, 0x3f317217
	v_mul_f32_e32 v4, 0x3f317217, v5
	v_fma_f32 v4, v5, s4, -v4
	v_fmac_f32_e32 v4, 0x3377d1cf, v5
	s_mov_b32 s4, 0x7f800000
	v_fmac_f32_e32 v4, 0x3f317217, v5
	v_cmp_lt_f32_e64 s[4:5], |v5|, s4
	v_cndmask_b32_e64 v4, v5, v4, s[4:5]
	v_mul_f32_e32 v5, 0x3fb8aa3b, v7
	s_mov_b32 s4, 0x3fb8aa3b
	v_rndne_f32_e32 v6, v5
	v_sub_f32_e32 v11, v5, v6
	v_fma_f32 v5, v7, s4, -v5
	v_fmac_f32_e32 v5, 0x32a5705f, v7
	v_add_f32_e32 v5, v11, v5
	v_exp_f32_e32 v5, v5
	v_cvt_i32_f32_e32 v6, v6
	v_mov_b32_e32 v11, 0x41b17218
	s_mov_b32 s4, 0xc2ce8ed0
	v_cndmask_b32_e32 v11, 0, v11, vcc
	v_ldexp_f32 v5, v5, v6
	v_cmp_ngt_f32_e32 vcc, s4, v7
	s_mov_b32 s4, 0x42b17218
	v_cndmask_b32_e32 v5, 0, v5, vcc
	v_mov_b32_e32 v6, 0x7f800000
	v_cmp_nlt_f32_e32 vcc, s4, v7
	v_sub_f32_e32 v4, v4, v11
	v_cndmask_b32_e32 v5, v6, v5, vcc
	v_fma_f32 v6, v7, 0.5, -2.0
	v_mov_b32_e32 v11, 0x24199b15
	v_fmac_f32_e32 v11, 0xa2a2e5b9, v6
	v_mov_b32_e32 v12, 0x22a2e5b9
	v_fmac_f32_e32 v12, v6, v11
	v_add_f32_e32 v12, 0xa58c275c, v12
	v_fma_f32 v11, v6, v12, -v11
	v_add_f32_e32 v11, 0x26f736c5, v11
	v_fma_f32 v12, v6, v11, -v12
	;; [unrolled: 2-line block ×27, first 2 shown]
	v_add_f32_e32 v6, 0x3f2d4275, v6
	v_sub_f32_e32 v6, v6, v11
	v_mul_f32_e32 v6, 0.5, v6
	v_mul_f32_e32 v6, v5, v6
	v_mul_f32_e32 v4, v4, v6
	v_fma_f32 v3, v3, 0.5, -v4
	v_mul_f32_e32 v3, v5, v3
.LBB11_12:
	s_andn2_saveexec_b64 s[12:13], s[12:13]
	s_cbranch_execz .LBB11_14
; %bb.13:
	s_mov_b32 s14, 0x41000000
	v_div_scale_f32 v3, s[4:5], v7, v7, s14
	v_div_scale_f32 v4, vcc, s14, v7, s14
	s_mov_b32 s4, 0xf800000
	v_mul_f32_e32 v5, 0x4f800000, v7
	v_cmp_gt_f32_e64 s[4:5], s4, v7
	v_cndmask_b32_e64 v5, v7, v5, s[4:5]
	v_sqrt_f32_e32 v11, v5
	v_add_u32_e32 v14, 1, v11
	v_fma_f32 v16, -v14, v11, v5
	v_rcp_f32_e32 v6, v3
	v_fma_f32 v12, -v3, v6, 1.0
	v_fmac_f32_e32 v6, v12, v6
	v_mul_f32_e32 v12, v4, v6
	v_fma_f32 v13, -v3, v12, v4
	v_fmac_f32_e32 v12, v13, v6
	v_fma_f32 v3, -v3, v12, v4
	v_div_fmas_f32 v3, v3, v6, v12
	v_mov_b32_e32 v4, 0xa397f665
	v_mov_b32_e32 v6, 0xa2c38d2e
	v_add_u32_e32 v13, -1, v11
	v_fma_f32 v15, -v13, v11, v5
	v_cmp_ge_f32_e32 vcc, 0, v15
	v_cndmask_b32_e32 v11, v11, v13, vcc
	v_cmp_lt_f32_e32 vcc, 0, v16
	v_cndmask_b32_e32 v11, v11, v14, vcc
	v_mov_b32_e32 v12, 0x260
	v_mul_f32_e32 v13, 0x37800000, v11
	v_cndmask_b32_e64 v11, v11, v13, s[4:5]
	v_cmp_class_f32_e32 vcc, v5, v12
	v_cndmask_b32_e32 v5, v11, v5, vcc
	v_div_fixup_f32 v3, v3, v7, s14
	v_add_f32_e32 v3, -2.0, v3
	v_fmac_f32_e32 v4, 0x22c38d2e, v3
	v_fmac_f32_e32 v6, v3, v4
	v_add_f32_e32 v6, 0x24704972, v6
	v_fma_f32 v4, v3, v6, -v4
	v_add_f32_e32 v4, 0xa5417ca4, v4
	v_fma_f32 v6, v3, v4, -v6
	;; [unrolled: 2-line block ×22, first 2 shown]
	v_add_f32_e32 v3, 0x401c2ded, v3
	v_sub_f32_e32 v3, v3, v6
	v_mul_f32_e32 v3, 0.5, v3
	v_div_scale_f32 v4, s[4:5], v5, v5, v3
	v_div_scale_f32 v6, vcc, v3, v5, v3
	v_rcp_f32_e32 v7, v4
	v_fma_f32 v11, -v4, v7, 1.0
	v_fmac_f32_e32 v7, v11, v7
	v_mul_f32_e32 v11, v6, v7
	v_fma_f32 v12, -v4, v11, v6
	v_fmac_f32_e32 v11, v12, v7
	v_fma_f32 v4, -v4, v11, v6
	v_div_fmas_f32 v4, v4, v7, v11
	v_div_fixup_f32 v3, v4, v5, v3
.LBB11_14:
	s_or_b64 exec, exec, s[12:13]
.LBB11_15:
	s_or_b64 exec, exec, s[10:11]
.LBB11_16:
	s_or_b64 exec, exec, s[8:9]
	v_cmp_neq_f32_e32 vcc, 0, v8
	v_mov_b32_e32 v5, 0x7f800000
	v_mov_b32_e32 v4, 0x7f800000
	s_and_saveexec_b64 s[8:9], vcc
	s_cbranch_execz .LBB11_24
; %bb.17:
	v_cmp_ngt_f32_e32 vcc, 0, v8
	v_mov_b32_e32 v4, 0x7fc00000
	s_and_saveexec_b64 s[10:11], vcc
	s_cbranch_execz .LBB11_23
; %bb.18:
	v_cmp_ge_f32_e32 vcc, 2.0, v8
	s_and_saveexec_b64 s[4:5], vcc
	s_xor_b64 s[12:13], exec, s[4:5]
	s_cbranch_execz .LBB11_20
; %bb.19:
	v_fma_f32 v4, v8, v8, -2.0
	v_mov_b32_e32 v6, 0x293fd856
	v_fmac_f32_e32 v6, 0x251e770f, v4
	v_mov_b32_e32 v7, 0xa51e770f
	v_fmac_f32_e32 v7, v4, v6
	v_add_f32_e32 v7, 0x2d3612e2, v7
	v_fma_f32 v6, v4, v7, -v6
	v_add_f32_e32 v6, 0x3102e09b, v6
	v_fma_f32 v7, v4, v6, -v7
	;; [unrolled: 2-line block ×7, first 2 shown]
	v_mul_f32_e32 v7, 0.5, v8
	s_mov_b32 s4, 0x800000
	v_cmp_gt_f32_e32 vcc, s4, v7
	v_cndmask_b32_e64 v11, 0, 32, vcc
	v_ldexp_f32 v7, v7, v11
	v_log_f32_e32 v7, v7
	v_add_f32_e32 v4, 0xbf090b37, v4
	v_sub_f32_e32 v4, v4, v6
	s_mov_b32 s4, 0x3f317217
	v_mul_f32_e32 v6, 0x3f317217, v7
	v_fma_f32 v6, v7, s4, -v6
	v_fmac_f32_e32 v6, 0x3377d1cf, v7
	s_mov_b32 s4, 0x7f800000
	v_fmac_f32_e32 v6, 0x3f317217, v7
	v_cmp_lt_f32_e64 s[4:5], |v7|, s4
	v_cndmask_b32_e64 v6, v7, v6, s[4:5]
	v_mul_f32_e32 v7, 0x3fb8aa3b, v8
	s_mov_b32 s4, 0x3fb8aa3b
	v_rndne_f32_e32 v11, v7
	v_sub_f32_e32 v12, v7, v11
	v_fma_f32 v7, v8, s4, -v7
	v_fmac_f32_e32 v7, 0x32a5705f, v8
	v_add_f32_e32 v7, v12, v7
	v_exp_f32_e32 v7, v7
	v_cvt_i32_f32_e32 v11, v11
	v_mov_b32_e32 v12, 0x41b17218
	s_mov_b32 s4, 0xc2ce8ed0
	v_cndmask_b32_e32 v12, 0, v12, vcc
	v_ldexp_f32 v7, v7, v11
	v_cmp_ngt_f32_e32 vcc, s4, v8
	s_mov_b32 s4, 0x42b17218
	v_cndmask_b32_e32 v7, 0, v7, vcc
	v_mov_b32_e32 v11, 0x7f800000
	v_cmp_nlt_f32_e32 vcc, s4, v8
	v_sub_f32_e32 v6, v6, v12
	v_cndmask_b32_e32 v7, v11, v7, vcc
	v_fma_f32 v11, v8, 0.5, -2.0
	v_mov_b32_e32 v12, 0x24199b15
	v_fmac_f32_e32 v12, 0xa2a2e5b9, v11
	v_mov_b32_e32 v13, 0x22a2e5b9
	v_fmac_f32_e32 v13, v11, v12
	v_add_f32_e32 v13, 0xa58c275c, v13
	v_fma_f32 v12, v11, v13, -v12
	v_add_f32_e32 v12, 0x26f736c5, v12
	v_fma_f32 v13, v11, v12, -v13
	;; [unrolled: 2-line block ×27, first 2 shown]
	v_add_f32_e32 v11, 0x3f2d4275, v11
	v_sub_f32_e32 v11, v11, v12
	v_mul_f32_e32 v11, 0.5, v11
	v_mul_f32_e32 v11, v7, v11
	v_mul_f32_e32 v6, v6, v11
	v_fma_f32 v4, v4, 0.5, -v6
	v_mul_f32_e32 v4, v7, v4
.LBB11_20:
	s_andn2_saveexec_b64 s[12:13], s[12:13]
	s_cbranch_execz .LBB11_22
; %bb.21:
	s_mov_b32 s14, 0x41000000
	v_div_scale_f32 v4, s[4:5], v8, v8, s14
	v_div_scale_f32 v6, vcc, s14, v8, s14
	s_mov_b32 s4, 0xf800000
	v_mul_f32_e32 v7, 0x4f800000, v8
	v_cmp_gt_f32_e64 s[4:5], s4, v8
	v_cndmask_b32_e64 v7, v8, v7, s[4:5]
	v_sqrt_f32_e32 v12, v7
	v_add_u32_e32 v15, 1, v12
	v_fma_f32 v17, -v15, v12, v7
	v_rcp_f32_e32 v11, v4
	v_fma_f32 v13, -v4, v11, 1.0
	v_fmac_f32_e32 v11, v13, v11
	v_mul_f32_e32 v13, v6, v11
	v_fma_f32 v14, -v4, v13, v6
	v_fmac_f32_e32 v13, v14, v11
	v_fma_f32 v4, -v4, v13, v6
	v_div_fmas_f32 v4, v4, v11, v13
	v_mov_b32_e32 v6, 0xa397f665
	v_mov_b32_e32 v11, 0xa2c38d2e
	v_add_u32_e32 v14, -1, v12
	v_fma_f32 v16, -v14, v12, v7
	v_cmp_ge_f32_e32 vcc, 0, v16
	v_cndmask_b32_e32 v12, v12, v14, vcc
	v_cmp_lt_f32_e32 vcc, 0, v17
	v_cndmask_b32_e32 v12, v12, v15, vcc
	v_mov_b32_e32 v13, 0x260
	v_mul_f32_e32 v14, 0x37800000, v12
	v_cndmask_b32_e64 v12, v12, v14, s[4:5]
	v_cmp_class_f32_e32 vcc, v7, v13
	v_cndmask_b32_e32 v7, v12, v7, vcc
	v_div_fixup_f32 v4, v4, v8, s14
	v_add_f32_e32 v4, -2.0, v4
	v_fmac_f32_e32 v6, 0x22c38d2e, v4
	v_fmac_f32_e32 v11, v4, v6
	v_add_f32_e32 v8, 0x24704972, v11
	v_fma_f32 v6, v4, v8, -v6
	v_add_f32_e32 v6, 0xa5417ca4, v6
	v_fma_f32 v8, v4, v6, -v8
	;; [unrolled: 2-line block ×22, first 2 shown]
	v_add_f32_e32 v4, 0x401c2ded, v4
	v_sub_f32_e32 v4, v4, v8
	v_mul_f32_e32 v4, 0.5, v4
	v_div_scale_f32 v6, s[4:5], v7, v7, v4
	v_div_scale_f32 v8, vcc, v4, v7, v4
	v_rcp_f32_e32 v11, v6
	v_fma_f32 v12, -v6, v11, 1.0
	v_fmac_f32_e32 v11, v12, v11
	v_mul_f32_e32 v12, v8, v11
	v_fma_f32 v13, -v6, v12, v8
	v_fmac_f32_e32 v12, v13, v11
	v_fma_f32 v6, -v6, v12, v8
	v_div_fmas_f32 v6, v6, v11, v12
	v_div_fixup_f32 v4, v6, v7, v4
.LBB11_22:
	s_or_b64 exec, exec, s[12:13]
.LBB11_23:
	s_or_b64 exec, exec, s[10:11]
.LBB11_24:
	s_or_b64 exec, exec, s[8:9]
	v_cmp_neq_f32_e32 vcc, 0, v9
	s_and_saveexec_b64 s[8:9], vcc
	s_cbranch_execz .LBB11_32
; %bb.25:
	v_cmp_ngt_f32_e32 vcc, 0, v9
	v_mov_b32_e32 v5, 0x7fc00000
	s_and_saveexec_b64 s[10:11], vcc
	s_cbranch_execz .LBB11_31
; %bb.26:
	v_cmp_ge_f32_e32 vcc, 2.0, v9
	s_and_saveexec_b64 s[4:5], vcc
	s_xor_b64 s[12:13], exec, s[4:5]
	s_cbranch_execz .LBB11_28
; %bb.27:
	v_fma_f32 v5, v9, v9, -2.0
	v_mov_b32_e32 v6, 0x293fd856
	v_fmac_f32_e32 v6, 0x251e770f, v5
	v_mov_b32_e32 v7, 0xa51e770f
	v_fmac_f32_e32 v7, v5, v6
	v_add_f32_e32 v7, 0x2d3612e2, v7
	v_fma_f32 v6, v5, v7, -v6
	v_add_f32_e32 v6, 0x3102e09b, v6
	v_fma_f32 v7, v5, v6, -v7
	;; [unrolled: 2-line block ×7, first 2 shown]
	v_mul_f32_e32 v7, 0.5, v9
	s_mov_b32 s4, 0x800000
	v_cmp_gt_f32_e32 vcc, s4, v7
	v_cndmask_b32_e64 v8, 0, 32, vcc
	v_ldexp_f32 v7, v7, v8
	v_log_f32_e32 v7, v7
	v_add_f32_e32 v5, 0xbf090b37, v5
	v_sub_f32_e32 v5, v5, v6
	s_mov_b32 s4, 0x3f317217
	v_mul_f32_e32 v6, 0x3f317217, v7
	v_fma_f32 v6, v7, s4, -v6
	v_fmac_f32_e32 v6, 0x3377d1cf, v7
	s_mov_b32 s4, 0x7f800000
	v_fmac_f32_e32 v6, 0x3f317217, v7
	v_cmp_lt_f32_e64 s[4:5], |v7|, s4
	v_cndmask_b32_e64 v6, v7, v6, s[4:5]
	v_mul_f32_e32 v7, 0x3fb8aa3b, v9
	s_mov_b32 s4, 0x3fb8aa3b
	v_rndne_f32_e32 v8, v7
	v_sub_f32_e32 v11, v7, v8
	v_fma_f32 v7, v9, s4, -v7
	v_fmac_f32_e32 v7, 0x32a5705f, v9
	v_add_f32_e32 v7, v11, v7
	v_exp_f32_e32 v7, v7
	v_cvt_i32_f32_e32 v8, v8
	v_mov_b32_e32 v11, 0x41b17218
	s_mov_b32 s4, 0xc2ce8ed0
	v_cndmask_b32_e32 v11, 0, v11, vcc
	v_ldexp_f32 v7, v7, v8
	v_cmp_ngt_f32_e32 vcc, s4, v9
	s_mov_b32 s4, 0x42b17218
	v_cndmask_b32_e32 v7, 0, v7, vcc
	v_mov_b32_e32 v8, 0x7f800000
	v_cmp_nlt_f32_e32 vcc, s4, v9
	v_cndmask_b32_e32 v7, v8, v7, vcc
	v_fma_f32 v8, v9, 0.5, -2.0
	v_mov_b32_e32 v9, 0x24199b15
	v_sub_f32_e32 v6, v6, v11
	v_fmac_f32_e32 v9, 0xa2a2e5b9, v8
	v_mov_b32_e32 v11, 0x22a2e5b9
	v_fmac_f32_e32 v11, v8, v9
	v_add_f32_e32 v11, 0xa58c275c, v11
	v_fma_f32 v9, v8, v11, -v9
	v_add_f32_e32 v9, 0x26f736c5, v9
	v_fma_f32 v11, v8, v9, -v11
	;; [unrolled: 2-line block ×27, first 2 shown]
	v_add_f32_e32 v8, 0x3f2d4275, v8
	v_sub_f32_e32 v8, v8, v9
	v_mul_f32_e32 v8, 0.5, v8
	v_mul_f32_e32 v8, v7, v8
	v_mul_f32_e32 v6, v6, v8
	v_fma_f32 v5, v5, 0.5, -v6
	v_mul_f32_e32 v5, v7, v5
                                        ; implicit-def: $vgpr6_vgpr7_vgpr8_vgpr9
.LBB11_28:
	s_andn2_saveexec_b64 s[12:13], s[12:13]
	s_cbranch_execz .LBB11_30
; %bb.29:
	s_mov_b32 s14, 0x41000000
	v_div_scale_f32 v5, s[4:5], v9, v9, s14
	v_div_scale_f32 v6, vcc, s14, v9, s14
	s_mov_b32 s4, 0xf800000
	v_mul_f32_e32 v7, 0x4f800000, v9
	v_cmp_gt_f32_e64 s[4:5], s4, v9
	v_cndmask_b32_e64 v7, v9, v7, s[4:5]
	v_sqrt_f32_e32 v11, v7
	v_add_u32_e32 v14, 1, v11
	v_fma_f32 v16, -v14, v11, v7
	v_rcp_f32_e32 v8, v5
	v_fma_f32 v12, -v5, v8, 1.0
	v_fmac_f32_e32 v8, v12, v8
	v_mul_f32_e32 v12, v6, v8
	v_fma_f32 v13, -v5, v12, v6
	v_fmac_f32_e32 v12, v13, v8
	v_fma_f32 v5, -v5, v12, v6
	v_div_fmas_f32 v5, v5, v8, v12
	v_mov_b32_e32 v6, 0xa397f665
	v_mov_b32_e32 v8, 0xa2c38d2e
	v_add_u32_e32 v13, -1, v11
	v_fma_f32 v15, -v13, v11, v7
	v_cmp_ge_f32_e32 vcc, 0, v15
	v_cndmask_b32_e32 v11, v11, v13, vcc
	v_cmp_lt_f32_e32 vcc, 0, v16
	v_cndmask_b32_e32 v11, v11, v14, vcc
	v_mov_b32_e32 v12, 0x260
	v_mul_f32_e32 v13, 0x37800000, v11
	v_cndmask_b32_e64 v11, v11, v13, s[4:5]
	v_cmp_class_f32_e32 vcc, v7, v12
	v_cndmask_b32_e32 v7, v11, v7, vcc
	v_div_fixup_f32 v5, v5, v9, s14
	v_add_f32_e32 v5, -2.0, v5
	v_fmac_f32_e32 v6, 0x22c38d2e, v5
	v_fmac_f32_e32 v8, v5, v6
	v_add_f32_e32 v8, 0x24704972, v8
	v_fma_f32 v6, v5, v8, -v6
	v_add_f32_e32 v6, 0xa5417ca4, v6
	v_fma_f32 v8, v5, v6, -v8
	;; [unrolled: 2-line block ×22, first 2 shown]
	v_add_f32_e32 v5, 0x401c2ded, v5
	v_sub_f32_e32 v5, v5, v8
	v_mul_f32_e32 v5, 0.5, v5
	v_div_scale_f32 v6, s[4:5], v7, v7, v5
	v_div_scale_f32 v8, vcc, v5, v7, v5
	v_rcp_f32_e32 v9, v6
	v_fma_f32 v11, -v6, v9, 1.0
	v_fmac_f32_e32 v9, v11, v9
	v_mul_f32_e32 v11, v8, v9
	v_fma_f32 v12, -v6, v11, v8
	v_fmac_f32_e32 v11, v12, v9
	v_fma_f32 v6, -v6, v11, v8
	v_div_fmas_f32 v6, v6, v9, v11
	v_div_fixup_f32 v5, v6, v7, v5
.LBB11_30:
	s_or_b64 exec, exec, s[12:13]
.LBB11_31:
	s_or_b64 exec, exec, s[10:11]
.LBB11_32:
	s_or_b64 exec, exec, s[8:9]
	v_mov_b32_e32 v6, s7
	v_add_co_u32_e32 v0, vcc, s6, v0
	v_addc_co_u32_e32 v1, vcc, v1, v6, vcc
	v_add_co_u32_e32 v0, vcc, v0, v10
	v_addc_co_u32_e32 v1, vcc, 0, v1, vcc
	flat_store_dwordx4 v[0:1], v[2:5]
	s_waitcnt vmcnt(0) lgkmcnt(0)
	s_setpc_b64 s[30:31]
.Lfunc_end11:
	.size	_ZN2at6native25elementwise_kernel_helperILb0EZZZNS0_12_GLOBAL__N_137scaled_modified_bessel_k0_kernel_cudaERNS_18TensorIteratorBaseEENKUlvE_clEvENKUlvE0_clEvEUlfE_NS0_6memory8policies10vectorizedILi4ESt5arrayIPcLm2EELi4EEEEEvT0_T1_, .Lfunc_end11-_ZN2at6native25elementwise_kernel_helperILb0EZZZNS0_12_GLOBAL__N_137scaled_modified_bessel_k0_kernel_cudaERNS_18TensorIteratorBaseEENKUlvE_clEvENKUlvE0_clEvEUlfE_NS0_6memory8policies10vectorizedILi4ESt5arrayIPcLm2EELi4EEEEEvT0_T1_
                                        ; -- End function
	.set .L_ZN2at6native25elementwise_kernel_helperILb0EZZZNS0_12_GLOBAL__N_137scaled_modified_bessel_k0_kernel_cudaERNS_18TensorIteratorBaseEENKUlvE_clEvENKUlvE0_clEvEUlfE_NS0_6memory8policies10vectorizedILi4ESt5arrayIPcLm2EELi4EEEEEvT0_T1_.num_vgpr, 32
	.set .L_ZN2at6native25elementwise_kernel_helperILb0EZZZNS0_12_GLOBAL__N_137scaled_modified_bessel_k0_kernel_cudaERNS_18TensorIteratorBaseEENKUlvE_clEvENKUlvE0_clEvEUlfE_NS0_6memory8policies10vectorizedILi4ESt5arrayIPcLm2EELi4EEEEEvT0_T1_.num_agpr, 0
	.set .L_ZN2at6native25elementwise_kernel_helperILb0EZZZNS0_12_GLOBAL__N_137scaled_modified_bessel_k0_kernel_cudaERNS_18TensorIteratorBaseEENKUlvE_clEvENKUlvE0_clEvEUlfE_NS0_6memory8policies10vectorizedILi4ESt5arrayIPcLm2EELi4EEEEEvT0_T1_.numbered_sgpr, 32
	.set .L_ZN2at6native25elementwise_kernel_helperILb0EZZZNS0_12_GLOBAL__N_137scaled_modified_bessel_k0_kernel_cudaERNS_18TensorIteratorBaseEENKUlvE_clEvENKUlvE0_clEvEUlfE_NS0_6memory8policies10vectorizedILi4ESt5arrayIPcLm2EELi4EEEEEvT0_T1_.num_named_barrier, 0
	.set .L_ZN2at6native25elementwise_kernel_helperILb0EZZZNS0_12_GLOBAL__N_137scaled_modified_bessel_k0_kernel_cudaERNS_18TensorIteratorBaseEENKUlvE_clEvENKUlvE0_clEvEUlfE_NS0_6memory8policies10vectorizedILi4ESt5arrayIPcLm2EELi4EEEEEvT0_T1_.private_seg_size, 0
	.set .L_ZN2at6native25elementwise_kernel_helperILb0EZZZNS0_12_GLOBAL__N_137scaled_modified_bessel_k0_kernel_cudaERNS_18TensorIteratorBaseEENKUlvE_clEvENKUlvE0_clEvEUlfE_NS0_6memory8policies10vectorizedILi4ESt5arrayIPcLm2EELi4EEEEEvT0_T1_.uses_vcc, 1
	.set .L_ZN2at6native25elementwise_kernel_helperILb0EZZZNS0_12_GLOBAL__N_137scaled_modified_bessel_k0_kernel_cudaERNS_18TensorIteratorBaseEENKUlvE_clEvENKUlvE0_clEvEUlfE_NS0_6memory8policies10vectorizedILi4ESt5arrayIPcLm2EELi4EEEEEvT0_T1_.uses_flat_scratch, 0
	.set .L_ZN2at6native25elementwise_kernel_helperILb0EZZZNS0_12_GLOBAL__N_137scaled_modified_bessel_k0_kernel_cudaERNS_18TensorIteratorBaseEENKUlvE_clEvENKUlvE0_clEvEUlfE_NS0_6memory8policies10vectorizedILi4ESt5arrayIPcLm2EELi4EEEEEvT0_T1_.has_dyn_sized_stack, 0
	.set .L_ZN2at6native25elementwise_kernel_helperILb0EZZZNS0_12_GLOBAL__N_137scaled_modified_bessel_k0_kernel_cudaERNS_18TensorIteratorBaseEENKUlvE_clEvENKUlvE0_clEvEUlfE_NS0_6memory8policies10vectorizedILi4ESt5arrayIPcLm2EELi4EEEEEvT0_T1_.has_recursion, 0
	.set .L_ZN2at6native25elementwise_kernel_helperILb0EZZZNS0_12_GLOBAL__N_137scaled_modified_bessel_k0_kernel_cudaERNS_18TensorIteratorBaseEENKUlvE_clEvENKUlvE0_clEvEUlfE_NS0_6memory8policies10vectorizedILi4ESt5arrayIPcLm2EELi4EEEEEvT0_T1_.has_indirect_call, 0
	.section	.AMDGPU.csdata,"",@progbits
; Function info:
; codeLenInByte = 6560
; TotalNumSgprs: 36
; NumVgprs: 32
; ScratchSize: 0
; MemoryBound: 0
	.section	.text._ZN2at6native29vectorized_elementwise_kernelILi16EZZZNS0_12_GLOBAL__N_137scaled_modified_bessel_k0_kernel_cudaERNS_18TensorIteratorBaseEENKUlvE_clEvENKUlvE0_clEvEUlfE_St5arrayIPcLm2EEEEviT0_T1_,"axG",@progbits,_ZN2at6native29vectorized_elementwise_kernelILi16EZZZNS0_12_GLOBAL__N_137scaled_modified_bessel_k0_kernel_cudaERNS_18TensorIteratorBaseEENKUlvE_clEvENKUlvE0_clEvEUlfE_St5arrayIPcLm2EEEEviT0_T1_,comdat
	.globl	_ZN2at6native29vectorized_elementwise_kernelILi16EZZZNS0_12_GLOBAL__N_137scaled_modified_bessel_k0_kernel_cudaERNS_18TensorIteratorBaseEENKUlvE_clEvENKUlvE0_clEvEUlfE_St5arrayIPcLm2EEEEviT0_T1_ ; -- Begin function _ZN2at6native29vectorized_elementwise_kernelILi16EZZZNS0_12_GLOBAL__N_137scaled_modified_bessel_k0_kernel_cudaERNS_18TensorIteratorBaseEENKUlvE_clEvENKUlvE0_clEvEUlfE_St5arrayIPcLm2EEEEviT0_T1_
	.p2align	8
	.type	_ZN2at6native29vectorized_elementwise_kernelILi16EZZZNS0_12_GLOBAL__N_137scaled_modified_bessel_k0_kernel_cudaERNS_18TensorIteratorBaseEENKUlvE_clEvENKUlvE0_clEvEUlfE_St5arrayIPcLm2EEEEviT0_T1_,@function
_ZN2at6native29vectorized_elementwise_kernelILi16EZZZNS0_12_GLOBAL__N_137scaled_modified_bessel_k0_kernel_cudaERNS_18TensorIteratorBaseEENKUlvE_clEvENKUlvE0_clEvEUlfE_St5arrayIPcLm2EEEEviT0_T1_: ; @_ZN2at6native29vectorized_elementwise_kernelILi16EZZZNS0_12_GLOBAL__N_137scaled_modified_bessel_k0_kernel_cudaERNS_18TensorIteratorBaseEENKUlvE_clEvENKUlvE0_clEvEUlfE_St5arrayIPcLm2EEEEviT0_T1_
; %bb.0:
	s_mov_b32 s15, s6
	s_load_dword s6, s[4:5], 0x0
	s_load_dwordx4 s[16:19], s[4:5], 0x8
	s_add_u32 s0, s0, s7
	s_addc_u32 s1, s1, 0
	s_lshl_b32 s4, s15, 10
	s_waitcnt lgkmcnt(0)
	s_sub_i32 s20, s6, s4
	v_mov_b32_e32 v31, v0
	s_cmpk_gt_i32 s20, 0x3ff
	s_mov_b64 s[4:5], -1
	s_mov_b32 s32, 0
	s_cbranch_scc1 .LBB12_3
; %bb.1:
	s_andn2_b64 vcc, exec, s[4:5]
	s_cbranch_vccz .LBB12_4
.LBB12_2:
	s_endpgm
.LBB12_3:
	s_getpc_b64 s[4:5]
	s_add_u32 s4, s4, _ZN2at6native25elementwise_kernel_helperILb0EZZZNS0_12_GLOBAL__N_137scaled_modified_bessel_k0_kernel_cudaERNS_18TensorIteratorBaseEENKUlvE_clEvENKUlvE0_clEvEUlfE_NS0_6memory8policies10vectorizedILi4ESt5arrayIPcLm2EELi4EEEEEvT0_T1_@rel32@lo+4
	s_addc_u32 s5, s5, _ZN2at6native25elementwise_kernel_helperILb0EZZZNS0_12_GLOBAL__N_137scaled_modified_bessel_k0_kernel_cudaERNS_18TensorIteratorBaseEENKUlvE_clEvENKUlvE0_clEvEUlfE_NS0_6memory8policies10vectorizedILi4ESt5arrayIPcLm2EELi4EEEEEvT0_T1_@rel32@hi+12
	s_mov_b32 s12, s15
	v_mov_b32_e32 v0, s16
	v_mov_b32_e32 v1, s17
	;; [unrolled: 1-line block ×4, first 2 shown]
	s_swappc_b64 s[30:31], s[4:5]
	s_cbranch_execnz .LBB12_2
.LBB12_4:
	s_getpc_b64 s[4:5]
	s_add_u32 s4, s4, _ZN2at6native25elementwise_kernel_helperILb0EZZZNS0_12_GLOBAL__N_137scaled_modified_bessel_k0_kernel_cudaERNS_18TensorIteratorBaseEENKUlvE_clEvENKUlvE0_clEvEUlfE_NS0_6memory8policies11unroll_baseILi256ESt5arrayIPcLm2EE23TrivialOffsetCalculatorILi1EjESF_NS8_15LoadWithoutCastENS8_16StoreWithoutCastELi4ELi1EEEEEvT0_T1_@rel32@lo+4
	s_addc_u32 s5, s5, _ZN2at6native25elementwise_kernel_helperILb0EZZZNS0_12_GLOBAL__N_137scaled_modified_bessel_k0_kernel_cudaERNS_18TensorIteratorBaseEENKUlvE_clEvENKUlvE0_clEvEUlfE_NS0_6memory8policies11unroll_baseILi256ESt5arrayIPcLm2EE23TrivialOffsetCalculatorILi1EjESF_NS8_15LoadWithoutCastENS8_16StoreWithoutCastELi4ELi1EEEEEvT0_T1_@rel32@hi+12
	s_mov_b32 s12, s15
	v_mov_b32_e32 v0, s16
	v_mov_b32_e32 v1, s17
	;; [unrolled: 1-line block ×5, first 2 shown]
	s_swappc_b64 s[30:31], s[4:5]
	s_endpgm
	.section	.rodata,"a",@progbits
	.p2align	6, 0x0
	.amdhsa_kernel _ZN2at6native29vectorized_elementwise_kernelILi16EZZZNS0_12_GLOBAL__N_137scaled_modified_bessel_k0_kernel_cudaERNS_18TensorIteratorBaseEENKUlvE_clEvENKUlvE0_clEvEUlfE_St5arrayIPcLm2EEEEviT0_T1_
		.amdhsa_group_segment_fixed_size 0
		.amdhsa_private_segment_fixed_size 0
		.amdhsa_kernarg_size 24
		.amdhsa_user_sgpr_count 6
		.amdhsa_user_sgpr_private_segment_buffer 1
		.amdhsa_user_sgpr_dispatch_ptr 0
		.amdhsa_user_sgpr_queue_ptr 0
		.amdhsa_user_sgpr_kernarg_segment_ptr 1
		.amdhsa_user_sgpr_dispatch_id 0
		.amdhsa_user_sgpr_flat_scratch_init 0
		.amdhsa_user_sgpr_private_segment_size 0
		.amdhsa_uses_dynamic_stack 0
		.amdhsa_system_sgpr_private_segment_wavefront_offset 0
		.amdhsa_system_sgpr_workgroup_id_x 1
		.amdhsa_system_sgpr_workgroup_id_y 0
		.amdhsa_system_sgpr_workgroup_id_z 0
		.amdhsa_system_sgpr_workgroup_info 0
		.amdhsa_system_vgpr_workitem_id 0
		.amdhsa_next_free_vgpr 32
		.amdhsa_next_free_sgpr 33
		.amdhsa_reserve_vcc 1
		.amdhsa_reserve_flat_scratch 0
		.amdhsa_float_round_mode_32 0
		.amdhsa_float_round_mode_16_64 0
		.amdhsa_float_denorm_mode_32 3
		.amdhsa_float_denorm_mode_16_64 3
		.amdhsa_dx10_clamp 1
		.amdhsa_ieee_mode 1
		.amdhsa_fp16_overflow 0
		.amdhsa_exception_fp_ieee_invalid_op 0
		.amdhsa_exception_fp_denorm_src 0
		.amdhsa_exception_fp_ieee_div_zero 0
		.amdhsa_exception_fp_ieee_overflow 0
		.amdhsa_exception_fp_ieee_underflow 0
		.amdhsa_exception_fp_ieee_inexact 0
		.amdhsa_exception_int_div_zero 0
	.end_amdhsa_kernel
	.section	.text._ZN2at6native29vectorized_elementwise_kernelILi16EZZZNS0_12_GLOBAL__N_137scaled_modified_bessel_k0_kernel_cudaERNS_18TensorIteratorBaseEENKUlvE_clEvENKUlvE0_clEvEUlfE_St5arrayIPcLm2EEEEviT0_T1_,"axG",@progbits,_ZN2at6native29vectorized_elementwise_kernelILi16EZZZNS0_12_GLOBAL__N_137scaled_modified_bessel_k0_kernel_cudaERNS_18TensorIteratorBaseEENKUlvE_clEvENKUlvE0_clEvEUlfE_St5arrayIPcLm2EEEEviT0_T1_,comdat
.Lfunc_end12:
	.size	_ZN2at6native29vectorized_elementwise_kernelILi16EZZZNS0_12_GLOBAL__N_137scaled_modified_bessel_k0_kernel_cudaERNS_18TensorIteratorBaseEENKUlvE_clEvENKUlvE0_clEvEUlfE_St5arrayIPcLm2EEEEviT0_T1_, .Lfunc_end12-_ZN2at6native29vectorized_elementwise_kernelILi16EZZZNS0_12_GLOBAL__N_137scaled_modified_bessel_k0_kernel_cudaERNS_18TensorIteratorBaseEENKUlvE_clEvENKUlvE0_clEvEUlfE_St5arrayIPcLm2EEEEviT0_T1_
                                        ; -- End function
	.set _ZN2at6native29vectorized_elementwise_kernelILi16EZZZNS0_12_GLOBAL__N_137scaled_modified_bessel_k0_kernel_cudaERNS_18TensorIteratorBaseEENKUlvE_clEvENKUlvE0_clEvEUlfE_St5arrayIPcLm2EEEEviT0_T1_.num_vgpr, max(32, .L_ZN2at6native25elementwise_kernel_helperILb0EZZZNS0_12_GLOBAL__N_137scaled_modified_bessel_k0_kernel_cudaERNS_18TensorIteratorBaseEENKUlvE_clEvENKUlvE0_clEvEUlfE_NS0_6memory8policies10vectorizedILi4ESt5arrayIPcLm2EELi4EEEEEvT0_T1_.num_vgpr, .L_ZN2at6native25elementwise_kernel_helperILb0EZZZNS0_12_GLOBAL__N_137scaled_modified_bessel_k0_kernel_cudaERNS_18TensorIteratorBaseEENKUlvE_clEvENKUlvE0_clEvEUlfE_NS0_6memory8policies11unroll_baseILi256ESt5arrayIPcLm2EE23TrivialOffsetCalculatorILi1EjESF_NS8_15LoadWithoutCastENS8_16StoreWithoutCastELi4ELi1EEEEEvT0_T1_.num_vgpr)
	.set _ZN2at6native29vectorized_elementwise_kernelILi16EZZZNS0_12_GLOBAL__N_137scaled_modified_bessel_k0_kernel_cudaERNS_18TensorIteratorBaseEENKUlvE_clEvENKUlvE0_clEvEUlfE_St5arrayIPcLm2EEEEviT0_T1_.num_agpr, max(0, .L_ZN2at6native25elementwise_kernel_helperILb0EZZZNS0_12_GLOBAL__N_137scaled_modified_bessel_k0_kernel_cudaERNS_18TensorIteratorBaseEENKUlvE_clEvENKUlvE0_clEvEUlfE_NS0_6memory8policies10vectorizedILi4ESt5arrayIPcLm2EELi4EEEEEvT0_T1_.num_agpr, .L_ZN2at6native25elementwise_kernel_helperILb0EZZZNS0_12_GLOBAL__N_137scaled_modified_bessel_k0_kernel_cudaERNS_18TensorIteratorBaseEENKUlvE_clEvENKUlvE0_clEvEUlfE_NS0_6memory8policies11unroll_baseILi256ESt5arrayIPcLm2EE23TrivialOffsetCalculatorILi1EjESF_NS8_15LoadWithoutCastENS8_16StoreWithoutCastELi4ELi1EEEEEvT0_T1_.num_agpr)
	.set _ZN2at6native29vectorized_elementwise_kernelILi16EZZZNS0_12_GLOBAL__N_137scaled_modified_bessel_k0_kernel_cudaERNS_18TensorIteratorBaseEENKUlvE_clEvENKUlvE0_clEvEUlfE_St5arrayIPcLm2EEEEviT0_T1_.numbered_sgpr, max(33, .L_ZN2at6native25elementwise_kernel_helperILb0EZZZNS0_12_GLOBAL__N_137scaled_modified_bessel_k0_kernel_cudaERNS_18TensorIteratorBaseEENKUlvE_clEvENKUlvE0_clEvEUlfE_NS0_6memory8policies10vectorizedILi4ESt5arrayIPcLm2EELi4EEEEEvT0_T1_.numbered_sgpr, .L_ZN2at6native25elementwise_kernel_helperILb0EZZZNS0_12_GLOBAL__N_137scaled_modified_bessel_k0_kernel_cudaERNS_18TensorIteratorBaseEENKUlvE_clEvENKUlvE0_clEvEUlfE_NS0_6memory8policies11unroll_baseILi256ESt5arrayIPcLm2EE23TrivialOffsetCalculatorILi1EjESF_NS8_15LoadWithoutCastENS8_16StoreWithoutCastELi4ELi1EEEEEvT0_T1_.numbered_sgpr)
	.set _ZN2at6native29vectorized_elementwise_kernelILi16EZZZNS0_12_GLOBAL__N_137scaled_modified_bessel_k0_kernel_cudaERNS_18TensorIteratorBaseEENKUlvE_clEvENKUlvE0_clEvEUlfE_St5arrayIPcLm2EEEEviT0_T1_.num_named_barrier, max(0, .L_ZN2at6native25elementwise_kernel_helperILb0EZZZNS0_12_GLOBAL__N_137scaled_modified_bessel_k0_kernel_cudaERNS_18TensorIteratorBaseEENKUlvE_clEvENKUlvE0_clEvEUlfE_NS0_6memory8policies10vectorizedILi4ESt5arrayIPcLm2EELi4EEEEEvT0_T1_.num_named_barrier, .L_ZN2at6native25elementwise_kernel_helperILb0EZZZNS0_12_GLOBAL__N_137scaled_modified_bessel_k0_kernel_cudaERNS_18TensorIteratorBaseEENKUlvE_clEvENKUlvE0_clEvEUlfE_NS0_6memory8policies11unroll_baseILi256ESt5arrayIPcLm2EE23TrivialOffsetCalculatorILi1EjESF_NS8_15LoadWithoutCastENS8_16StoreWithoutCastELi4ELi1EEEEEvT0_T1_.num_named_barrier)
	.set _ZN2at6native29vectorized_elementwise_kernelILi16EZZZNS0_12_GLOBAL__N_137scaled_modified_bessel_k0_kernel_cudaERNS_18TensorIteratorBaseEENKUlvE_clEvENKUlvE0_clEvEUlfE_St5arrayIPcLm2EEEEviT0_T1_.private_seg_size, 0+max(.L_ZN2at6native25elementwise_kernel_helperILb0EZZZNS0_12_GLOBAL__N_137scaled_modified_bessel_k0_kernel_cudaERNS_18TensorIteratorBaseEENKUlvE_clEvENKUlvE0_clEvEUlfE_NS0_6memory8policies10vectorizedILi4ESt5arrayIPcLm2EELi4EEEEEvT0_T1_.private_seg_size, .L_ZN2at6native25elementwise_kernel_helperILb0EZZZNS0_12_GLOBAL__N_137scaled_modified_bessel_k0_kernel_cudaERNS_18TensorIteratorBaseEENKUlvE_clEvENKUlvE0_clEvEUlfE_NS0_6memory8policies11unroll_baseILi256ESt5arrayIPcLm2EE23TrivialOffsetCalculatorILi1EjESF_NS8_15LoadWithoutCastENS8_16StoreWithoutCastELi4ELi1EEEEEvT0_T1_.private_seg_size)
	.set _ZN2at6native29vectorized_elementwise_kernelILi16EZZZNS0_12_GLOBAL__N_137scaled_modified_bessel_k0_kernel_cudaERNS_18TensorIteratorBaseEENKUlvE_clEvENKUlvE0_clEvEUlfE_St5arrayIPcLm2EEEEviT0_T1_.uses_vcc, or(1, .L_ZN2at6native25elementwise_kernel_helperILb0EZZZNS0_12_GLOBAL__N_137scaled_modified_bessel_k0_kernel_cudaERNS_18TensorIteratorBaseEENKUlvE_clEvENKUlvE0_clEvEUlfE_NS0_6memory8policies10vectorizedILi4ESt5arrayIPcLm2EELi4EEEEEvT0_T1_.uses_vcc, .L_ZN2at6native25elementwise_kernel_helperILb0EZZZNS0_12_GLOBAL__N_137scaled_modified_bessel_k0_kernel_cudaERNS_18TensorIteratorBaseEENKUlvE_clEvENKUlvE0_clEvEUlfE_NS0_6memory8policies11unroll_baseILi256ESt5arrayIPcLm2EE23TrivialOffsetCalculatorILi1EjESF_NS8_15LoadWithoutCastENS8_16StoreWithoutCastELi4ELi1EEEEEvT0_T1_.uses_vcc)
	.set _ZN2at6native29vectorized_elementwise_kernelILi16EZZZNS0_12_GLOBAL__N_137scaled_modified_bessel_k0_kernel_cudaERNS_18TensorIteratorBaseEENKUlvE_clEvENKUlvE0_clEvEUlfE_St5arrayIPcLm2EEEEviT0_T1_.uses_flat_scratch, or(0, .L_ZN2at6native25elementwise_kernel_helperILb0EZZZNS0_12_GLOBAL__N_137scaled_modified_bessel_k0_kernel_cudaERNS_18TensorIteratorBaseEENKUlvE_clEvENKUlvE0_clEvEUlfE_NS0_6memory8policies10vectorizedILi4ESt5arrayIPcLm2EELi4EEEEEvT0_T1_.uses_flat_scratch, .L_ZN2at6native25elementwise_kernel_helperILb0EZZZNS0_12_GLOBAL__N_137scaled_modified_bessel_k0_kernel_cudaERNS_18TensorIteratorBaseEENKUlvE_clEvENKUlvE0_clEvEUlfE_NS0_6memory8policies11unroll_baseILi256ESt5arrayIPcLm2EE23TrivialOffsetCalculatorILi1EjESF_NS8_15LoadWithoutCastENS8_16StoreWithoutCastELi4ELi1EEEEEvT0_T1_.uses_flat_scratch)
	.set _ZN2at6native29vectorized_elementwise_kernelILi16EZZZNS0_12_GLOBAL__N_137scaled_modified_bessel_k0_kernel_cudaERNS_18TensorIteratorBaseEENKUlvE_clEvENKUlvE0_clEvEUlfE_St5arrayIPcLm2EEEEviT0_T1_.has_dyn_sized_stack, or(0, .L_ZN2at6native25elementwise_kernel_helperILb0EZZZNS0_12_GLOBAL__N_137scaled_modified_bessel_k0_kernel_cudaERNS_18TensorIteratorBaseEENKUlvE_clEvENKUlvE0_clEvEUlfE_NS0_6memory8policies10vectorizedILi4ESt5arrayIPcLm2EELi4EEEEEvT0_T1_.has_dyn_sized_stack, .L_ZN2at6native25elementwise_kernel_helperILb0EZZZNS0_12_GLOBAL__N_137scaled_modified_bessel_k0_kernel_cudaERNS_18TensorIteratorBaseEENKUlvE_clEvENKUlvE0_clEvEUlfE_NS0_6memory8policies11unroll_baseILi256ESt5arrayIPcLm2EE23TrivialOffsetCalculatorILi1EjESF_NS8_15LoadWithoutCastENS8_16StoreWithoutCastELi4ELi1EEEEEvT0_T1_.has_dyn_sized_stack)
	.set _ZN2at6native29vectorized_elementwise_kernelILi16EZZZNS0_12_GLOBAL__N_137scaled_modified_bessel_k0_kernel_cudaERNS_18TensorIteratorBaseEENKUlvE_clEvENKUlvE0_clEvEUlfE_St5arrayIPcLm2EEEEviT0_T1_.has_recursion, or(0, .L_ZN2at6native25elementwise_kernel_helperILb0EZZZNS0_12_GLOBAL__N_137scaled_modified_bessel_k0_kernel_cudaERNS_18TensorIteratorBaseEENKUlvE_clEvENKUlvE0_clEvEUlfE_NS0_6memory8policies10vectorizedILi4ESt5arrayIPcLm2EELi4EEEEEvT0_T1_.has_recursion, .L_ZN2at6native25elementwise_kernel_helperILb0EZZZNS0_12_GLOBAL__N_137scaled_modified_bessel_k0_kernel_cudaERNS_18TensorIteratorBaseEENKUlvE_clEvENKUlvE0_clEvEUlfE_NS0_6memory8policies11unroll_baseILi256ESt5arrayIPcLm2EE23TrivialOffsetCalculatorILi1EjESF_NS8_15LoadWithoutCastENS8_16StoreWithoutCastELi4ELi1EEEEEvT0_T1_.has_recursion)
	.set _ZN2at6native29vectorized_elementwise_kernelILi16EZZZNS0_12_GLOBAL__N_137scaled_modified_bessel_k0_kernel_cudaERNS_18TensorIteratorBaseEENKUlvE_clEvENKUlvE0_clEvEUlfE_St5arrayIPcLm2EEEEviT0_T1_.has_indirect_call, or(0, .L_ZN2at6native25elementwise_kernel_helperILb0EZZZNS0_12_GLOBAL__N_137scaled_modified_bessel_k0_kernel_cudaERNS_18TensorIteratorBaseEENKUlvE_clEvENKUlvE0_clEvEUlfE_NS0_6memory8policies10vectorizedILi4ESt5arrayIPcLm2EELi4EEEEEvT0_T1_.has_indirect_call, .L_ZN2at6native25elementwise_kernel_helperILb0EZZZNS0_12_GLOBAL__N_137scaled_modified_bessel_k0_kernel_cudaERNS_18TensorIteratorBaseEENKUlvE_clEvENKUlvE0_clEvEUlfE_NS0_6memory8policies11unroll_baseILi256ESt5arrayIPcLm2EE23TrivialOffsetCalculatorILi1EjESF_NS8_15LoadWithoutCastENS8_16StoreWithoutCastELi4ELi1EEEEEvT0_T1_.has_indirect_call)
	.section	.AMDGPU.csdata,"",@progbits
; Kernel info:
; codeLenInByte = 172
; TotalNumSgprs: 37
; NumVgprs: 32
; ScratchSize: 0
; MemoryBound: 0
; FloatMode: 240
; IeeeMode: 1
; LDSByteSize: 0 bytes/workgroup (compile time only)
; SGPRBlocks: 4
; VGPRBlocks: 7
; NumSGPRsForWavesPerEU: 37
; NumVGPRsForWavesPerEU: 32
; Occupancy: 8
; WaveLimiterHint : 0
; COMPUTE_PGM_RSRC2:SCRATCH_EN: 0
; COMPUTE_PGM_RSRC2:USER_SGPR: 6
; COMPUTE_PGM_RSRC2:TRAP_HANDLER: 0
; COMPUTE_PGM_RSRC2:TGID_X_EN: 1
; COMPUTE_PGM_RSRC2:TGID_Y_EN: 0
; COMPUTE_PGM_RSRC2:TGID_Z_EN: 0
; COMPUTE_PGM_RSRC2:TIDIG_COMP_CNT: 0
	.section	.text._ZN2at6native29vectorized_elementwise_kernelILi8EZZZNS0_12_GLOBAL__N_137scaled_modified_bessel_k0_kernel_cudaERNS_18TensorIteratorBaseEENKUlvE_clEvENKUlvE0_clEvEUlfE_St5arrayIPcLm2EEEEviT0_T1_,"axG",@progbits,_ZN2at6native29vectorized_elementwise_kernelILi8EZZZNS0_12_GLOBAL__N_137scaled_modified_bessel_k0_kernel_cudaERNS_18TensorIteratorBaseEENKUlvE_clEvENKUlvE0_clEvEUlfE_St5arrayIPcLm2EEEEviT0_T1_,comdat
	.globl	_ZN2at6native29vectorized_elementwise_kernelILi8EZZZNS0_12_GLOBAL__N_137scaled_modified_bessel_k0_kernel_cudaERNS_18TensorIteratorBaseEENKUlvE_clEvENKUlvE0_clEvEUlfE_St5arrayIPcLm2EEEEviT0_T1_ ; -- Begin function _ZN2at6native29vectorized_elementwise_kernelILi8EZZZNS0_12_GLOBAL__N_137scaled_modified_bessel_k0_kernel_cudaERNS_18TensorIteratorBaseEENKUlvE_clEvENKUlvE0_clEvEUlfE_St5arrayIPcLm2EEEEviT0_T1_
	.p2align	8
	.type	_ZN2at6native29vectorized_elementwise_kernelILi8EZZZNS0_12_GLOBAL__N_137scaled_modified_bessel_k0_kernel_cudaERNS_18TensorIteratorBaseEENKUlvE_clEvENKUlvE0_clEvEUlfE_St5arrayIPcLm2EEEEviT0_T1_,@function
_ZN2at6native29vectorized_elementwise_kernelILi8EZZZNS0_12_GLOBAL__N_137scaled_modified_bessel_k0_kernel_cudaERNS_18TensorIteratorBaseEENKUlvE_clEvENKUlvE0_clEvEUlfE_St5arrayIPcLm2EEEEviT0_T1_: ; @_ZN2at6native29vectorized_elementwise_kernelILi8EZZZNS0_12_GLOBAL__N_137scaled_modified_bessel_k0_kernel_cudaERNS_18TensorIteratorBaseEENKUlvE_clEvENKUlvE0_clEvEUlfE_St5arrayIPcLm2EEEEviT0_T1_
; %bb.0:
	s_mov_b32 s15, s6
	s_load_dword s6, s[4:5], 0x0
	s_load_dwordx4 s[16:19], s[4:5], 0x8
	s_add_u32 s0, s0, s7
	s_addc_u32 s1, s1, 0
	s_lshl_b32 s4, s15, 10
	s_waitcnt lgkmcnt(0)
	s_sub_i32 s20, s6, s4
	v_mov_b32_e32 v31, v0
	s_cmpk_gt_i32 s20, 0x3ff
	s_mov_b64 s[4:5], -1
	s_mov_b32 s32, 0
	s_cbranch_scc1 .LBB13_3
; %bb.1:
	s_andn2_b64 vcc, exec, s[4:5]
	s_cbranch_vccz .LBB13_4
.LBB13_2:
	s_endpgm
.LBB13_3:
	s_getpc_b64 s[4:5]
	s_add_u32 s4, s4, _ZN2at6native25elementwise_kernel_helperILb0EZZZNS0_12_GLOBAL__N_137scaled_modified_bessel_k0_kernel_cudaERNS_18TensorIteratorBaseEENKUlvE_clEvENKUlvE0_clEvEUlfE_NS0_6memory8policies10vectorizedILi4ESt5arrayIPcLm2EELi4EEEEEvT0_T1_@rel32@lo+4
	s_addc_u32 s5, s5, _ZN2at6native25elementwise_kernel_helperILb0EZZZNS0_12_GLOBAL__N_137scaled_modified_bessel_k0_kernel_cudaERNS_18TensorIteratorBaseEENKUlvE_clEvENKUlvE0_clEvEUlfE_NS0_6memory8policies10vectorizedILi4ESt5arrayIPcLm2EELi4EEEEEvT0_T1_@rel32@hi+12
	s_mov_b32 s12, s15
	v_mov_b32_e32 v0, s16
	v_mov_b32_e32 v1, s17
	;; [unrolled: 1-line block ×4, first 2 shown]
	s_swappc_b64 s[30:31], s[4:5]
	s_cbranch_execnz .LBB13_2
.LBB13_4:
	s_getpc_b64 s[4:5]
	s_add_u32 s4, s4, _ZN2at6native25elementwise_kernel_helperILb0EZZZNS0_12_GLOBAL__N_137scaled_modified_bessel_k0_kernel_cudaERNS_18TensorIteratorBaseEENKUlvE_clEvENKUlvE0_clEvEUlfE_NS0_6memory8policies11unroll_baseILi256ESt5arrayIPcLm2EE23TrivialOffsetCalculatorILi1EjESF_NS8_15LoadWithoutCastENS8_16StoreWithoutCastELi4ELi1EEEEEvT0_T1_@rel32@lo+4
	s_addc_u32 s5, s5, _ZN2at6native25elementwise_kernel_helperILb0EZZZNS0_12_GLOBAL__N_137scaled_modified_bessel_k0_kernel_cudaERNS_18TensorIteratorBaseEENKUlvE_clEvENKUlvE0_clEvEUlfE_NS0_6memory8policies11unroll_baseILi256ESt5arrayIPcLm2EE23TrivialOffsetCalculatorILi1EjESF_NS8_15LoadWithoutCastENS8_16StoreWithoutCastELi4ELi1EEEEEvT0_T1_@rel32@hi+12
	s_mov_b32 s12, s15
	v_mov_b32_e32 v0, s16
	v_mov_b32_e32 v1, s17
	;; [unrolled: 1-line block ×5, first 2 shown]
	s_swappc_b64 s[30:31], s[4:5]
	s_endpgm
	.section	.rodata,"a",@progbits
	.p2align	6, 0x0
	.amdhsa_kernel _ZN2at6native29vectorized_elementwise_kernelILi8EZZZNS0_12_GLOBAL__N_137scaled_modified_bessel_k0_kernel_cudaERNS_18TensorIteratorBaseEENKUlvE_clEvENKUlvE0_clEvEUlfE_St5arrayIPcLm2EEEEviT0_T1_
		.amdhsa_group_segment_fixed_size 0
		.amdhsa_private_segment_fixed_size 0
		.amdhsa_kernarg_size 24
		.amdhsa_user_sgpr_count 6
		.amdhsa_user_sgpr_private_segment_buffer 1
		.amdhsa_user_sgpr_dispatch_ptr 0
		.amdhsa_user_sgpr_queue_ptr 0
		.amdhsa_user_sgpr_kernarg_segment_ptr 1
		.amdhsa_user_sgpr_dispatch_id 0
		.amdhsa_user_sgpr_flat_scratch_init 0
		.amdhsa_user_sgpr_private_segment_size 0
		.amdhsa_uses_dynamic_stack 0
		.amdhsa_system_sgpr_private_segment_wavefront_offset 0
		.amdhsa_system_sgpr_workgroup_id_x 1
		.amdhsa_system_sgpr_workgroup_id_y 0
		.amdhsa_system_sgpr_workgroup_id_z 0
		.amdhsa_system_sgpr_workgroup_info 0
		.amdhsa_system_vgpr_workitem_id 0
		.amdhsa_next_free_vgpr 32
		.amdhsa_next_free_sgpr 33
		.amdhsa_reserve_vcc 1
		.amdhsa_reserve_flat_scratch 0
		.amdhsa_float_round_mode_32 0
		.amdhsa_float_round_mode_16_64 0
		.amdhsa_float_denorm_mode_32 3
		.amdhsa_float_denorm_mode_16_64 3
		.amdhsa_dx10_clamp 1
		.amdhsa_ieee_mode 1
		.amdhsa_fp16_overflow 0
		.amdhsa_exception_fp_ieee_invalid_op 0
		.amdhsa_exception_fp_denorm_src 0
		.amdhsa_exception_fp_ieee_div_zero 0
		.amdhsa_exception_fp_ieee_overflow 0
		.amdhsa_exception_fp_ieee_underflow 0
		.amdhsa_exception_fp_ieee_inexact 0
		.amdhsa_exception_int_div_zero 0
	.end_amdhsa_kernel
	.section	.text._ZN2at6native29vectorized_elementwise_kernelILi8EZZZNS0_12_GLOBAL__N_137scaled_modified_bessel_k0_kernel_cudaERNS_18TensorIteratorBaseEENKUlvE_clEvENKUlvE0_clEvEUlfE_St5arrayIPcLm2EEEEviT0_T1_,"axG",@progbits,_ZN2at6native29vectorized_elementwise_kernelILi8EZZZNS0_12_GLOBAL__N_137scaled_modified_bessel_k0_kernel_cudaERNS_18TensorIteratorBaseEENKUlvE_clEvENKUlvE0_clEvEUlfE_St5arrayIPcLm2EEEEviT0_T1_,comdat
.Lfunc_end13:
	.size	_ZN2at6native29vectorized_elementwise_kernelILi8EZZZNS0_12_GLOBAL__N_137scaled_modified_bessel_k0_kernel_cudaERNS_18TensorIteratorBaseEENKUlvE_clEvENKUlvE0_clEvEUlfE_St5arrayIPcLm2EEEEviT0_T1_, .Lfunc_end13-_ZN2at6native29vectorized_elementwise_kernelILi8EZZZNS0_12_GLOBAL__N_137scaled_modified_bessel_k0_kernel_cudaERNS_18TensorIteratorBaseEENKUlvE_clEvENKUlvE0_clEvEUlfE_St5arrayIPcLm2EEEEviT0_T1_
                                        ; -- End function
	.set _ZN2at6native29vectorized_elementwise_kernelILi8EZZZNS0_12_GLOBAL__N_137scaled_modified_bessel_k0_kernel_cudaERNS_18TensorIteratorBaseEENKUlvE_clEvENKUlvE0_clEvEUlfE_St5arrayIPcLm2EEEEviT0_T1_.num_vgpr, max(32, .L_ZN2at6native25elementwise_kernel_helperILb0EZZZNS0_12_GLOBAL__N_137scaled_modified_bessel_k0_kernel_cudaERNS_18TensorIteratorBaseEENKUlvE_clEvENKUlvE0_clEvEUlfE_NS0_6memory8policies10vectorizedILi4ESt5arrayIPcLm2EELi4EEEEEvT0_T1_.num_vgpr, .L_ZN2at6native25elementwise_kernel_helperILb0EZZZNS0_12_GLOBAL__N_137scaled_modified_bessel_k0_kernel_cudaERNS_18TensorIteratorBaseEENKUlvE_clEvENKUlvE0_clEvEUlfE_NS0_6memory8policies11unroll_baseILi256ESt5arrayIPcLm2EE23TrivialOffsetCalculatorILi1EjESF_NS8_15LoadWithoutCastENS8_16StoreWithoutCastELi4ELi1EEEEEvT0_T1_.num_vgpr)
	.set _ZN2at6native29vectorized_elementwise_kernelILi8EZZZNS0_12_GLOBAL__N_137scaled_modified_bessel_k0_kernel_cudaERNS_18TensorIteratorBaseEENKUlvE_clEvENKUlvE0_clEvEUlfE_St5arrayIPcLm2EEEEviT0_T1_.num_agpr, max(0, .L_ZN2at6native25elementwise_kernel_helperILb0EZZZNS0_12_GLOBAL__N_137scaled_modified_bessel_k0_kernel_cudaERNS_18TensorIteratorBaseEENKUlvE_clEvENKUlvE0_clEvEUlfE_NS0_6memory8policies10vectorizedILi4ESt5arrayIPcLm2EELi4EEEEEvT0_T1_.num_agpr, .L_ZN2at6native25elementwise_kernel_helperILb0EZZZNS0_12_GLOBAL__N_137scaled_modified_bessel_k0_kernel_cudaERNS_18TensorIteratorBaseEENKUlvE_clEvENKUlvE0_clEvEUlfE_NS0_6memory8policies11unroll_baseILi256ESt5arrayIPcLm2EE23TrivialOffsetCalculatorILi1EjESF_NS8_15LoadWithoutCastENS8_16StoreWithoutCastELi4ELi1EEEEEvT0_T1_.num_agpr)
	.set _ZN2at6native29vectorized_elementwise_kernelILi8EZZZNS0_12_GLOBAL__N_137scaled_modified_bessel_k0_kernel_cudaERNS_18TensorIteratorBaseEENKUlvE_clEvENKUlvE0_clEvEUlfE_St5arrayIPcLm2EEEEviT0_T1_.numbered_sgpr, max(33, .L_ZN2at6native25elementwise_kernel_helperILb0EZZZNS0_12_GLOBAL__N_137scaled_modified_bessel_k0_kernel_cudaERNS_18TensorIteratorBaseEENKUlvE_clEvENKUlvE0_clEvEUlfE_NS0_6memory8policies10vectorizedILi4ESt5arrayIPcLm2EELi4EEEEEvT0_T1_.numbered_sgpr, .L_ZN2at6native25elementwise_kernel_helperILb0EZZZNS0_12_GLOBAL__N_137scaled_modified_bessel_k0_kernel_cudaERNS_18TensorIteratorBaseEENKUlvE_clEvENKUlvE0_clEvEUlfE_NS0_6memory8policies11unroll_baseILi256ESt5arrayIPcLm2EE23TrivialOffsetCalculatorILi1EjESF_NS8_15LoadWithoutCastENS8_16StoreWithoutCastELi4ELi1EEEEEvT0_T1_.numbered_sgpr)
	.set _ZN2at6native29vectorized_elementwise_kernelILi8EZZZNS0_12_GLOBAL__N_137scaled_modified_bessel_k0_kernel_cudaERNS_18TensorIteratorBaseEENKUlvE_clEvENKUlvE0_clEvEUlfE_St5arrayIPcLm2EEEEviT0_T1_.num_named_barrier, max(0, .L_ZN2at6native25elementwise_kernel_helperILb0EZZZNS0_12_GLOBAL__N_137scaled_modified_bessel_k0_kernel_cudaERNS_18TensorIteratorBaseEENKUlvE_clEvENKUlvE0_clEvEUlfE_NS0_6memory8policies10vectorizedILi4ESt5arrayIPcLm2EELi4EEEEEvT0_T1_.num_named_barrier, .L_ZN2at6native25elementwise_kernel_helperILb0EZZZNS0_12_GLOBAL__N_137scaled_modified_bessel_k0_kernel_cudaERNS_18TensorIteratorBaseEENKUlvE_clEvENKUlvE0_clEvEUlfE_NS0_6memory8policies11unroll_baseILi256ESt5arrayIPcLm2EE23TrivialOffsetCalculatorILi1EjESF_NS8_15LoadWithoutCastENS8_16StoreWithoutCastELi4ELi1EEEEEvT0_T1_.num_named_barrier)
	.set _ZN2at6native29vectorized_elementwise_kernelILi8EZZZNS0_12_GLOBAL__N_137scaled_modified_bessel_k0_kernel_cudaERNS_18TensorIteratorBaseEENKUlvE_clEvENKUlvE0_clEvEUlfE_St5arrayIPcLm2EEEEviT0_T1_.private_seg_size, 0+max(.L_ZN2at6native25elementwise_kernel_helperILb0EZZZNS0_12_GLOBAL__N_137scaled_modified_bessel_k0_kernel_cudaERNS_18TensorIteratorBaseEENKUlvE_clEvENKUlvE0_clEvEUlfE_NS0_6memory8policies10vectorizedILi4ESt5arrayIPcLm2EELi4EEEEEvT0_T1_.private_seg_size, .L_ZN2at6native25elementwise_kernel_helperILb0EZZZNS0_12_GLOBAL__N_137scaled_modified_bessel_k0_kernel_cudaERNS_18TensorIteratorBaseEENKUlvE_clEvENKUlvE0_clEvEUlfE_NS0_6memory8policies11unroll_baseILi256ESt5arrayIPcLm2EE23TrivialOffsetCalculatorILi1EjESF_NS8_15LoadWithoutCastENS8_16StoreWithoutCastELi4ELi1EEEEEvT0_T1_.private_seg_size)
	.set _ZN2at6native29vectorized_elementwise_kernelILi8EZZZNS0_12_GLOBAL__N_137scaled_modified_bessel_k0_kernel_cudaERNS_18TensorIteratorBaseEENKUlvE_clEvENKUlvE0_clEvEUlfE_St5arrayIPcLm2EEEEviT0_T1_.uses_vcc, or(1, .L_ZN2at6native25elementwise_kernel_helperILb0EZZZNS0_12_GLOBAL__N_137scaled_modified_bessel_k0_kernel_cudaERNS_18TensorIteratorBaseEENKUlvE_clEvENKUlvE0_clEvEUlfE_NS0_6memory8policies10vectorizedILi4ESt5arrayIPcLm2EELi4EEEEEvT0_T1_.uses_vcc, .L_ZN2at6native25elementwise_kernel_helperILb0EZZZNS0_12_GLOBAL__N_137scaled_modified_bessel_k0_kernel_cudaERNS_18TensorIteratorBaseEENKUlvE_clEvENKUlvE0_clEvEUlfE_NS0_6memory8policies11unroll_baseILi256ESt5arrayIPcLm2EE23TrivialOffsetCalculatorILi1EjESF_NS8_15LoadWithoutCastENS8_16StoreWithoutCastELi4ELi1EEEEEvT0_T1_.uses_vcc)
	.set _ZN2at6native29vectorized_elementwise_kernelILi8EZZZNS0_12_GLOBAL__N_137scaled_modified_bessel_k0_kernel_cudaERNS_18TensorIteratorBaseEENKUlvE_clEvENKUlvE0_clEvEUlfE_St5arrayIPcLm2EEEEviT0_T1_.uses_flat_scratch, or(0, .L_ZN2at6native25elementwise_kernel_helperILb0EZZZNS0_12_GLOBAL__N_137scaled_modified_bessel_k0_kernel_cudaERNS_18TensorIteratorBaseEENKUlvE_clEvENKUlvE0_clEvEUlfE_NS0_6memory8policies10vectorizedILi4ESt5arrayIPcLm2EELi4EEEEEvT0_T1_.uses_flat_scratch, .L_ZN2at6native25elementwise_kernel_helperILb0EZZZNS0_12_GLOBAL__N_137scaled_modified_bessel_k0_kernel_cudaERNS_18TensorIteratorBaseEENKUlvE_clEvENKUlvE0_clEvEUlfE_NS0_6memory8policies11unroll_baseILi256ESt5arrayIPcLm2EE23TrivialOffsetCalculatorILi1EjESF_NS8_15LoadWithoutCastENS8_16StoreWithoutCastELi4ELi1EEEEEvT0_T1_.uses_flat_scratch)
	.set _ZN2at6native29vectorized_elementwise_kernelILi8EZZZNS0_12_GLOBAL__N_137scaled_modified_bessel_k0_kernel_cudaERNS_18TensorIteratorBaseEENKUlvE_clEvENKUlvE0_clEvEUlfE_St5arrayIPcLm2EEEEviT0_T1_.has_dyn_sized_stack, or(0, .L_ZN2at6native25elementwise_kernel_helperILb0EZZZNS0_12_GLOBAL__N_137scaled_modified_bessel_k0_kernel_cudaERNS_18TensorIteratorBaseEENKUlvE_clEvENKUlvE0_clEvEUlfE_NS0_6memory8policies10vectorizedILi4ESt5arrayIPcLm2EELi4EEEEEvT0_T1_.has_dyn_sized_stack, .L_ZN2at6native25elementwise_kernel_helperILb0EZZZNS0_12_GLOBAL__N_137scaled_modified_bessel_k0_kernel_cudaERNS_18TensorIteratorBaseEENKUlvE_clEvENKUlvE0_clEvEUlfE_NS0_6memory8policies11unroll_baseILi256ESt5arrayIPcLm2EE23TrivialOffsetCalculatorILi1EjESF_NS8_15LoadWithoutCastENS8_16StoreWithoutCastELi4ELi1EEEEEvT0_T1_.has_dyn_sized_stack)
	.set _ZN2at6native29vectorized_elementwise_kernelILi8EZZZNS0_12_GLOBAL__N_137scaled_modified_bessel_k0_kernel_cudaERNS_18TensorIteratorBaseEENKUlvE_clEvENKUlvE0_clEvEUlfE_St5arrayIPcLm2EEEEviT0_T1_.has_recursion, or(0, .L_ZN2at6native25elementwise_kernel_helperILb0EZZZNS0_12_GLOBAL__N_137scaled_modified_bessel_k0_kernel_cudaERNS_18TensorIteratorBaseEENKUlvE_clEvENKUlvE0_clEvEUlfE_NS0_6memory8policies10vectorizedILi4ESt5arrayIPcLm2EELi4EEEEEvT0_T1_.has_recursion, .L_ZN2at6native25elementwise_kernel_helperILb0EZZZNS0_12_GLOBAL__N_137scaled_modified_bessel_k0_kernel_cudaERNS_18TensorIteratorBaseEENKUlvE_clEvENKUlvE0_clEvEUlfE_NS0_6memory8policies11unroll_baseILi256ESt5arrayIPcLm2EE23TrivialOffsetCalculatorILi1EjESF_NS8_15LoadWithoutCastENS8_16StoreWithoutCastELi4ELi1EEEEEvT0_T1_.has_recursion)
	.set _ZN2at6native29vectorized_elementwise_kernelILi8EZZZNS0_12_GLOBAL__N_137scaled_modified_bessel_k0_kernel_cudaERNS_18TensorIteratorBaseEENKUlvE_clEvENKUlvE0_clEvEUlfE_St5arrayIPcLm2EEEEviT0_T1_.has_indirect_call, or(0, .L_ZN2at6native25elementwise_kernel_helperILb0EZZZNS0_12_GLOBAL__N_137scaled_modified_bessel_k0_kernel_cudaERNS_18TensorIteratorBaseEENKUlvE_clEvENKUlvE0_clEvEUlfE_NS0_6memory8policies10vectorizedILi4ESt5arrayIPcLm2EELi4EEEEEvT0_T1_.has_indirect_call, .L_ZN2at6native25elementwise_kernel_helperILb0EZZZNS0_12_GLOBAL__N_137scaled_modified_bessel_k0_kernel_cudaERNS_18TensorIteratorBaseEENKUlvE_clEvENKUlvE0_clEvEUlfE_NS0_6memory8policies11unroll_baseILi256ESt5arrayIPcLm2EE23TrivialOffsetCalculatorILi1EjESF_NS8_15LoadWithoutCastENS8_16StoreWithoutCastELi4ELi1EEEEEvT0_T1_.has_indirect_call)
	.section	.AMDGPU.csdata,"",@progbits
; Kernel info:
; codeLenInByte = 172
; TotalNumSgprs: 37
; NumVgprs: 32
; ScratchSize: 0
; MemoryBound: 0
; FloatMode: 240
; IeeeMode: 1
; LDSByteSize: 0 bytes/workgroup (compile time only)
; SGPRBlocks: 4
; VGPRBlocks: 7
; NumSGPRsForWavesPerEU: 37
; NumVGPRsForWavesPerEU: 32
; Occupancy: 8
; WaveLimiterHint : 0
; COMPUTE_PGM_RSRC2:SCRATCH_EN: 0
; COMPUTE_PGM_RSRC2:USER_SGPR: 6
; COMPUTE_PGM_RSRC2:TRAP_HANDLER: 0
; COMPUTE_PGM_RSRC2:TGID_X_EN: 1
; COMPUTE_PGM_RSRC2:TGID_Y_EN: 0
; COMPUTE_PGM_RSRC2:TGID_Z_EN: 0
; COMPUTE_PGM_RSRC2:TIDIG_COMP_CNT: 0
	.section	.text._ZN2at6native29vectorized_elementwise_kernelILi4EZZZNS0_12_GLOBAL__N_137scaled_modified_bessel_k0_kernel_cudaERNS_18TensorIteratorBaseEENKUlvE_clEvENKUlvE0_clEvEUlfE_St5arrayIPcLm2EEEEviT0_T1_,"axG",@progbits,_ZN2at6native29vectorized_elementwise_kernelILi4EZZZNS0_12_GLOBAL__N_137scaled_modified_bessel_k0_kernel_cudaERNS_18TensorIteratorBaseEENKUlvE_clEvENKUlvE0_clEvEUlfE_St5arrayIPcLm2EEEEviT0_T1_,comdat
	.globl	_ZN2at6native29vectorized_elementwise_kernelILi4EZZZNS0_12_GLOBAL__N_137scaled_modified_bessel_k0_kernel_cudaERNS_18TensorIteratorBaseEENKUlvE_clEvENKUlvE0_clEvEUlfE_St5arrayIPcLm2EEEEviT0_T1_ ; -- Begin function _ZN2at6native29vectorized_elementwise_kernelILi4EZZZNS0_12_GLOBAL__N_137scaled_modified_bessel_k0_kernel_cudaERNS_18TensorIteratorBaseEENKUlvE_clEvENKUlvE0_clEvEUlfE_St5arrayIPcLm2EEEEviT0_T1_
	.p2align	8
	.type	_ZN2at6native29vectorized_elementwise_kernelILi4EZZZNS0_12_GLOBAL__N_137scaled_modified_bessel_k0_kernel_cudaERNS_18TensorIteratorBaseEENKUlvE_clEvENKUlvE0_clEvEUlfE_St5arrayIPcLm2EEEEviT0_T1_,@function
_ZN2at6native29vectorized_elementwise_kernelILi4EZZZNS0_12_GLOBAL__N_137scaled_modified_bessel_k0_kernel_cudaERNS_18TensorIteratorBaseEENKUlvE_clEvENKUlvE0_clEvEUlfE_St5arrayIPcLm2EEEEviT0_T1_: ; @_ZN2at6native29vectorized_elementwise_kernelILi4EZZZNS0_12_GLOBAL__N_137scaled_modified_bessel_k0_kernel_cudaERNS_18TensorIteratorBaseEENKUlvE_clEvENKUlvE0_clEvEUlfE_St5arrayIPcLm2EEEEviT0_T1_
; %bb.0:
	s_mov_b32 s15, s6
	s_load_dword s6, s[4:5], 0x0
	s_load_dwordx4 s[16:19], s[4:5], 0x8
	s_add_u32 s0, s0, s7
	s_addc_u32 s1, s1, 0
	s_lshl_b32 s4, s15, 10
	s_waitcnt lgkmcnt(0)
	s_sub_i32 s20, s6, s4
	v_mov_b32_e32 v31, v0
	s_cmpk_gt_i32 s20, 0x3ff
	s_mov_b64 s[4:5], -1
	s_mov_b32 s32, 0
	s_cbranch_scc1 .LBB14_3
; %bb.1:
	s_andn2_b64 vcc, exec, s[4:5]
	s_cbranch_vccz .LBB14_4
.LBB14_2:
	s_endpgm
.LBB14_3:
	s_getpc_b64 s[4:5]
	s_add_u32 s4, s4, _ZN2at6native25elementwise_kernel_helperILb0EZZZNS0_12_GLOBAL__N_137scaled_modified_bessel_k0_kernel_cudaERNS_18TensorIteratorBaseEENKUlvE_clEvENKUlvE0_clEvEUlfE_NS0_6memory8policies10vectorizedILi4ESt5arrayIPcLm2EELi4EEEEEvT0_T1_@rel32@lo+4
	s_addc_u32 s5, s5, _ZN2at6native25elementwise_kernel_helperILb0EZZZNS0_12_GLOBAL__N_137scaled_modified_bessel_k0_kernel_cudaERNS_18TensorIteratorBaseEENKUlvE_clEvENKUlvE0_clEvEUlfE_NS0_6memory8policies10vectorizedILi4ESt5arrayIPcLm2EELi4EEEEEvT0_T1_@rel32@hi+12
	s_mov_b32 s12, s15
	v_mov_b32_e32 v0, s16
	v_mov_b32_e32 v1, s17
	;; [unrolled: 1-line block ×4, first 2 shown]
	s_swappc_b64 s[30:31], s[4:5]
	s_cbranch_execnz .LBB14_2
.LBB14_4:
	s_getpc_b64 s[4:5]
	s_add_u32 s4, s4, _ZN2at6native25elementwise_kernel_helperILb0EZZZNS0_12_GLOBAL__N_137scaled_modified_bessel_k0_kernel_cudaERNS_18TensorIteratorBaseEENKUlvE_clEvENKUlvE0_clEvEUlfE_NS0_6memory8policies11unroll_baseILi256ESt5arrayIPcLm2EE23TrivialOffsetCalculatorILi1EjESF_NS8_15LoadWithoutCastENS8_16StoreWithoutCastELi4ELi1EEEEEvT0_T1_@rel32@lo+4
	s_addc_u32 s5, s5, _ZN2at6native25elementwise_kernel_helperILb0EZZZNS0_12_GLOBAL__N_137scaled_modified_bessel_k0_kernel_cudaERNS_18TensorIteratorBaseEENKUlvE_clEvENKUlvE0_clEvEUlfE_NS0_6memory8policies11unroll_baseILi256ESt5arrayIPcLm2EE23TrivialOffsetCalculatorILi1EjESF_NS8_15LoadWithoutCastENS8_16StoreWithoutCastELi4ELi1EEEEEvT0_T1_@rel32@hi+12
	s_mov_b32 s12, s15
	v_mov_b32_e32 v0, s16
	v_mov_b32_e32 v1, s17
	;; [unrolled: 1-line block ×5, first 2 shown]
	s_swappc_b64 s[30:31], s[4:5]
	s_endpgm
	.section	.rodata,"a",@progbits
	.p2align	6, 0x0
	.amdhsa_kernel _ZN2at6native29vectorized_elementwise_kernelILi4EZZZNS0_12_GLOBAL__N_137scaled_modified_bessel_k0_kernel_cudaERNS_18TensorIteratorBaseEENKUlvE_clEvENKUlvE0_clEvEUlfE_St5arrayIPcLm2EEEEviT0_T1_
		.amdhsa_group_segment_fixed_size 0
		.amdhsa_private_segment_fixed_size 0
		.amdhsa_kernarg_size 24
		.amdhsa_user_sgpr_count 6
		.amdhsa_user_sgpr_private_segment_buffer 1
		.amdhsa_user_sgpr_dispatch_ptr 0
		.amdhsa_user_sgpr_queue_ptr 0
		.amdhsa_user_sgpr_kernarg_segment_ptr 1
		.amdhsa_user_sgpr_dispatch_id 0
		.amdhsa_user_sgpr_flat_scratch_init 0
		.amdhsa_user_sgpr_private_segment_size 0
		.amdhsa_uses_dynamic_stack 0
		.amdhsa_system_sgpr_private_segment_wavefront_offset 0
		.amdhsa_system_sgpr_workgroup_id_x 1
		.amdhsa_system_sgpr_workgroup_id_y 0
		.amdhsa_system_sgpr_workgroup_id_z 0
		.amdhsa_system_sgpr_workgroup_info 0
		.amdhsa_system_vgpr_workitem_id 0
		.amdhsa_next_free_vgpr 32
		.amdhsa_next_free_sgpr 33
		.amdhsa_reserve_vcc 1
		.amdhsa_reserve_flat_scratch 0
		.amdhsa_float_round_mode_32 0
		.amdhsa_float_round_mode_16_64 0
		.amdhsa_float_denorm_mode_32 3
		.amdhsa_float_denorm_mode_16_64 3
		.amdhsa_dx10_clamp 1
		.amdhsa_ieee_mode 1
		.amdhsa_fp16_overflow 0
		.amdhsa_exception_fp_ieee_invalid_op 0
		.amdhsa_exception_fp_denorm_src 0
		.amdhsa_exception_fp_ieee_div_zero 0
		.amdhsa_exception_fp_ieee_overflow 0
		.amdhsa_exception_fp_ieee_underflow 0
		.amdhsa_exception_fp_ieee_inexact 0
		.amdhsa_exception_int_div_zero 0
	.end_amdhsa_kernel
	.section	.text._ZN2at6native29vectorized_elementwise_kernelILi4EZZZNS0_12_GLOBAL__N_137scaled_modified_bessel_k0_kernel_cudaERNS_18TensorIteratorBaseEENKUlvE_clEvENKUlvE0_clEvEUlfE_St5arrayIPcLm2EEEEviT0_T1_,"axG",@progbits,_ZN2at6native29vectorized_elementwise_kernelILi4EZZZNS0_12_GLOBAL__N_137scaled_modified_bessel_k0_kernel_cudaERNS_18TensorIteratorBaseEENKUlvE_clEvENKUlvE0_clEvEUlfE_St5arrayIPcLm2EEEEviT0_T1_,comdat
.Lfunc_end14:
	.size	_ZN2at6native29vectorized_elementwise_kernelILi4EZZZNS0_12_GLOBAL__N_137scaled_modified_bessel_k0_kernel_cudaERNS_18TensorIteratorBaseEENKUlvE_clEvENKUlvE0_clEvEUlfE_St5arrayIPcLm2EEEEviT0_T1_, .Lfunc_end14-_ZN2at6native29vectorized_elementwise_kernelILi4EZZZNS0_12_GLOBAL__N_137scaled_modified_bessel_k0_kernel_cudaERNS_18TensorIteratorBaseEENKUlvE_clEvENKUlvE0_clEvEUlfE_St5arrayIPcLm2EEEEviT0_T1_
                                        ; -- End function
	.set _ZN2at6native29vectorized_elementwise_kernelILi4EZZZNS0_12_GLOBAL__N_137scaled_modified_bessel_k0_kernel_cudaERNS_18TensorIteratorBaseEENKUlvE_clEvENKUlvE0_clEvEUlfE_St5arrayIPcLm2EEEEviT0_T1_.num_vgpr, max(32, .L_ZN2at6native25elementwise_kernel_helperILb0EZZZNS0_12_GLOBAL__N_137scaled_modified_bessel_k0_kernel_cudaERNS_18TensorIteratorBaseEENKUlvE_clEvENKUlvE0_clEvEUlfE_NS0_6memory8policies10vectorizedILi4ESt5arrayIPcLm2EELi4EEEEEvT0_T1_.num_vgpr, .L_ZN2at6native25elementwise_kernel_helperILb0EZZZNS0_12_GLOBAL__N_137scaled_modified_bessel_k0_kernel_cudaERNS_18TensorIteratorBaseEENKUlvE_clEvENKUlvE0_clEvEUlfE_NS0_6memory8policies11unroll_baseILi256ESt5arrayIPcLm2EE23TrivialOffsetCalculatorILi1EjESF_NS8_15LoadWithoutCastENS8_16StoreWithoutCastELi4ELi1EEEEEvT0_T1_.num_vgpr)
	.set _ZN2at6native29vectorized_elementwise_kernelILi4EZZZNS0_12_GLOBAL__N_137scaled_modified_bessel_k0_kernel_cudaERNS_18TensorIteratorBaseEENKUlvE_clEvENKUlvE0_clEvEUlfE_St5arrayIPcLm2EEEEviT0_T1_.num_agpr, max(0, .L_ZN2at6native25elementwise_kernel_helperILb0EZZZNS0_12_GLOBAL__N_137scaled_modified_bessel_k0_kernel_cudaERNS_18TensorIteratorBaseEENKUlvE_clEvENKUlvE0_clEvEUlfE_NS0_6memory8policies10vectorizedILi4ESt5arrayIPcLm2EELi4EEEEEvT0_T1_.num_agpr, .L_ZN2at6native25elementwise_kernel_helperILb0EZZZNS0_12_GLOBAL__N_137scaled_modified_bessel_k0_kernel_cudaERNS_18TensorIteratorBaseEENKUlvE_clEvENKUlvE0_clEvEUlfE_NS0_6memory8policies11unroll_baseILi256ESt5arrayIPcLm2EE23TrivialOffsetCalculatorILi1EjESF_NS8_15LoadWithoutCastENS8_16StoreWithoutCastELi4ELi1EEEEEvT0_T1_.num_agpr)
	.set _ZN2at6native29vectorized_elementwise_kernelILi4EZZZNS0_12_GLOBAL__N_137scaled_modified_bessel_k0_kernel_cudaERNS_18TensorIteratorBaseEENKUlvE_clEvENKUlvE0_clEvEUlfE_St5arrayIPcLm2EEEEviT0_T1_.numbered_sgpr, max(33, .L_ZN2at6native25elementwise_kernel_helperILb0EZZZNS0_12_GLOBAL__N_137scaled_modified_bessel_k0_kernel_cudaERNS_18TensorIteratorBaseEENKUlvE_clEvENKUlvE0_clEvEUlfE_NS0_6memory8policies10vectorizedILi4ESt5arrayIPcLm2EELi4EEEEEvT0_T1_.numbered_sgpr, .L_ZN2at6native25elementwise_kernel_helperILb0EZZZNS0_12_GLOBAL__N_137scaled_modified_bessel_k0_kernel_cudaERNS_18TensorIteratorBaseEENKUlvE_clEvENKUlvE0_clEvEUlfE_NS0_6memory8policies11unroll_baseILi256ESt5arrayIPcLm2EE23TrivialOffsetCalculatorILi1EjESF_NS8_15LoadWithoutCastENS8_16StoreWithoutCastELi4ELi1EEEEEvT0_T1_.numbered_sgpr)
	.set _ZN2at6native29vectorized_elementwise_kernelILi4EZZZNS0_12_GLOBAL__N_137scaled_modified_bessel_k0_kernel_cudaERNS_18TensorIteratorBaseEENKUlvE_clEvENKUlvE0_clEvEUlfE_St5arrayIPcLm2EEEEviT0_T1_.num_named_barrier, max(0, .L_ZN2at6native25elementwise_kernel_helperILb0EZZZNS0_12_GLOBAL__N_137scaled_modified_bessel_k0_kernel_cudaERNS_18TensorIteratorBaseEENKUlvE_clEvENKUlvE0_clEvEUlfE_NS0_6memory8policies10vectorizedILi4ESt5arrayIPcLm2EELi4EEEEEvT0_T1_.num_named_barrier, .L_ZN2at6native25elementwise_kernel_helperILb0EZZZNS0_12_GLOBAL__N_137scaled_modified_bessel_k0_kernel_cudaERNS_18TensorIteratorBaseEENKUlvE_clEvENKUlvE0_clEvEUlfE_NS0_6memory8policies11unroll_baseILi256ESt5arrayIPcLm2EE23TrivialOffsetCalculatorILi1EjESF_NS8_15LoadWithoutCastENS8_16StoreWithoutCastELi4ELi1EEEEEvT0_T1_.num_named_barrier)
	.set _ZN2at6native29vectorized_elementwise_kernelILi4EZZZNS0_12_GLOBAL__N_137scaled_modified_bessel_k0_kernel_cudaERNS_18TensorIteratorBaseEENKUlvE_clEvENKUlvE0_clEvEUlfE_St5arrayIPcLm2EEEEviT0_T1_.private_seg_size, 0+max(.L_ZN2at6native25elementwise_kernel_helperILb0EZZZNS0_12_GLOBAL__N_137scaled_modified_bessel_k0_kernel_cudaERNS_18TensorIteratorBaseEENKUlvE_clEvENKUlvE0_clEvEUlfE_NS0_6memory8policies10vectorizedILi4ESt5arrayIPcLm2EELi4EEEEEvT0_T1_.private_seg_size, .L_ZN2at6native25elementwise_kernel_helperILb0EZZZNS0_12_GLOBAL__N_137scaled_modified_bessel_k0_kernel_cudaERNS_18TensorIteratorBaseEENKUlvE_clEvENKUlvE0_clEvEUlfE_NS0_6memory8policies11unroll_baseILi256ESt5arrayIPcLm2EE23TrivialOffsetCalculatorILi1EjESF_NS8_15LoadWithoutCastENS8_16StoreWithoutCastELi4ELi1EEEEEvT0_T1_.private_seg_size)
	.set _ZN2at6native29vectorized_elementwise_kernelILi4EZZZNS0_12_GLOBAL__N_137scaled_modified_bessel_k0_kernel_cudaERNS_18TensorIteratorBaseEENKUlvE_clEvENKUlvE0_clEvEUlfE_St5arrayIPcLm2EEEEviT0_T1_.uses_vcc, or(1, .L_ZN2at6native25elementwise_kernel_helperILb0EZZZNS0_12_GLOBAL__N_137scaled_modified_bessel_k0_kernel_cudaERNS_18TensorIteratorBaseEENKUlvE_clEvENKUlvE0_clEvEUlfE_NS0_6memory8policies10vectorizedILi4ESt5arrayIPcLm2EELi4EEEEEvT0_T1_.uses_vcc, .L_ZN2at6native25elementwise_kernel_helperILb0EZZZNS0_12_GLOBAL__N_137scaled_modified_bessel_k0_kernel_cudaERNS_18TensorIteratorBaseEENKUlvE_clEvENKUlvE0_clEvEUlfE_NS0_6memory8policies11unroll_baseILi256ESt5arrayIPcLm2EE23TrivialOffsetCalculatorILi1EjESF_NS8_15LoadWithoutCastENS8_16StoreWithoutCastELi4ELi1EEEEEvT0_T1_.uses_vcc)
	.set _ZN2at6native29vectorized_elementwise_kernelILi4EZZZNS0_12_GLOBAL__N_137scaled_modified_bessel_k0_kernel_cudaERNS_18TensorIteratorBaseEENKUlvE_clEvENKUlvE0_clEvEUlfE_St5arrayIPcLm2EEEEviT0_T1_.uses_flat_scratch, or(0, .L_ZN2at6native25elementwise_kernel_helperILb0EZZZNS0_12_GLOBAL__N_137scaled_modified_bessel_k0_kernel_cudaERNS_18TensorIteratorBaseEENKUlvE_clEvENKUlvE0_clEvEUlfE_NS0_6memory8policies10vectorizedILi4ESt5arrayIPcLm2EELi4EEEEEvT0_T1_.uses_flat_scratch, .L_ZN2at6native25elementwise_kernel_helperILb0EZZZNS0_12_GLOBAL__N_137scaled_modified_bessel_k0_kernel_cudaERNS_18TensorIteratorBaseEENKUlvE_clEvENKUlvE0_clEvEUlfE_NS0_6memory8policies11unroll_baseILi256ESt5arrayIPcLm2EE23TrivialOffsetCalculatorILi1EjESF_NS8_15LoadWithoutCastENS8_16StoreWithoutCastELi4ELi1EEEEEvT0_T1_.uses_flat_scratch)
	.set _ZN2at6native29vectorized_elementwise_kernelILi4EZZZNS0_12_GLOBAL__N_137scaled_modified_bessel_k0_kernel_cudaERNS_18TensorIteratorBaseEENKUlvE_clEvENKUlvE0_clEvEUlfE_St5arrayIPcLm2EEEEviT0_T1_.has_dyn_sized_stack, or(0, .L_ZN2at6native25elementwise_kernel_helperILb0EZZZNS0_12_GLOBAL__N_137scaled_modified_bessel_k0_kernel_cudaERNS_18TensorIteratorBaseEENKUlvE_clEvENKUlvE0_clEvEUlfE_NS0_6memory8policies10vectorizedILi4ESt5arrayIPcLm2EELi4EEEEEvT0_T1_.has_dyn_sized_stack, .L_ZN2at6native25elementwise_kernel_helperILb0EZZZNS0_12_GLOBAL__N_137scaled_modified_bessel_k0_kernel_cudaERNS_18TensorIteratorBaseEENKUlvE_clEvENKUlvE0_clEvEUlfE_NS0_6memory8policies11unroll_baseILi256ESt5arrayIPcLm2EE23TrivialOffsetCalculatorILi1EjESF_NS8_15LoadWithoutCastENS8_16StoreWithoutCastELi4ELi1EEEEEvT0_T1_.has_dyn_sized_stack)
	.set _ZN2at6native29vectorized_elementwise_kernelILi4EZZZNS0_12_GLOBAL__N_137scaled_modified_bessel_k0_kernel_cudaERNS_18TensorIteratorBaseEENKUlvE_clEvENKUlvE0_clEvEUlfE_St5arrayIPcLm2EEEEviT0_T1_.has_recursion, or(0, .L_ZN2at6native25elementwise_kernel_helperILb0EZZZNS0_12_GLOBAL__N_137scaled_modified_bessel_k0_kernel_cudaERNS_18TensorIteratorBaseEENKUlvE_clEvENKUlvE0_clEvEUlfE_NS0_6memory8policies10vectorizedILi4ESt5arrayIPcLm2EELi4EEEEEvT0_T1_.has_recursion, .L_ZN2at6native25elementwise_kernel_helperILb0EZZZNS0_12_GLOBAL__N_137scaled_modified_bessel_k0_kernel_cudaERNS_18TensorIteratorBaseEENKUlvE_clEvENKUlvE0_clEvEUlfE_NS0_6memory8policies11unroll_baseILi256ESt5arrayIPcLm2EE23TrivialOffsetCalculatorILi1EjESF_NS8_15LoadWithoutCastENS8_16StoreWithoutCastELi4ELi1EEEEEvT0_T1_.has_recursion)
	.set _ZN2at6native29vectorized_elementwise_kernelILi4EZZZNS0_12_GLOBAL__N_137scaled_modified_bessel_k0_kernel_cudaERNS_18TensorIteratorBaseEENKUlvE_clEvENKUlvE0_clEvEUlfE_St5arrayIPcLm2EEEEviT0_T1_.has_indirect_call, or(0, .L_ZN2at6native25elementwise_kernel_helperILb0EZZZNS0_12_GLOBAL__N_137scaled_modified_bessel_k0_kernel_cudaERNS_18TensorIteratorBaseEENKUlvE_clEvENKUlvE0_clEvEUlfE_NS0_6memory8policies10vectorizedILi4ESt5arrayIPcLm2EELi4EEEEEvT0_T1_.has_indirect_call, .L_ZN2at6native25elementwise_kernel_helperILb0EZZZNS0_12_GLOBAL__N_137scaled_modified_bessel_k0_kernel_cudaERNS_18TensorIteratorBaseEENKUlvE_clEvENKUlvE0_clEvEUlfE_NS0_6memory8policies11unroll_baseILi256ESt5arrayIPcLm2EE23TrivialOffsetCalculatorILi1EjESF_NS8_15LoadWithoutCastENS8_16StoreWithoutCastELi4ELi1EEEEEvT0_T1_.has_indirect_call)
	.section	.AMDGPU.csdata,"",@progbits
; Kernel info:
; codeLenInByte = 172
; TotalNumSgprs: 37
; NumVgprs: 32
; ScratchSize: 0
; MemoryBound: 0
; FloatMode: 240
; IeeeMode: 1
; LDSByteSize: 0 bytes/workgroup (compile time only)
; SGPRBlocks: 4
; VGPRBlocks: 7
; NumSGPRsForWavesPerEU: 37
; NumVGPRsForWavesPerEU: 32
; Occupancy: 8
; WaveLimiterHint : 0
; COMPUTE_PGM_RSRC2:SCRATCH_EN: 0
; COMPUTE_PGM_RSRC2:USER_SGPR: 6
; COMPUTE_PGM_RSRC2:TRAP_HANDLER: 0
; COMPUTE_PGM_RSRC2:TGID_X_EN: 1
; COMPUTE_PGM_RSRC2:TGID_Y_EN: 0
; COMPUTE_PGM_RSRC2:TGID_Z_EN: 0
; COMPUTE_PGM_RSRC2:TIDIG_COMP_CNT: 0
	.section	.text._ZN2at6native29vectorized_elementwise_kernelILi2EZZZNS0_12_GLOBAL__N_137scaled_modified_bessel_k0_kernel_cudaERNS_18TensorIteratorBaseEENKUlvE_clEvENKUlvE0_clEvEUlfE_St5arrayIPcLm2EEEEviT0_T1_,"axG",@progbits,_ZN2at6native29vectorized_elementwise_kernelILi2EZZZNS0_12_GLOBAL__N_137scaled_modified_bessel_k0_kernel_cudaERNS_18TensorIteratorBaseEENKUlvE_clEvENKUlvE0_clEvEUlfE_St5arrayIPcLm2EEEEviT0_T1_,comdat
	.globl	_ZN2at6native29vectorized_elementwise_kernelILi2EZZZNS0_12_GLOBAL__N_137scaled_modified_bessel_k0_kernel_cudaERNS_18TensorIteratorBaseEENKUlvE_clEvENKUlvE0_clEvEUlfE_St5arrayIPcLm2EEEEviT0_T1_ ; -- Begin function _ZN2at6native29vectorized_elementwise_kernelILi2EZZZNS0_12_GLOBAL__N_137scaled_modified_bessel_k0_kernel_cudaERNS_18TensorIteratorBaseEENKUlvE_clEvENKUlvE0_clEvEUlfE_St5arrayIPcLm2EEEEviT0_T1_
	.p2align	8
	.type	_ZN2at6native29vectorized_elementwise_kernelILi2EZZZNS0_12_GLOBAL__N_137scaled_modified_bessel_k0_kernel_cudaERNS_18TensorIteratorBaseEENKUlvE_clEvENKUlvE0_clEvEUlfE_St5arrayIPcLm2EEEEviT0_T1_,@function
_ZN2at6native29vectorized_elementwise_kernelILi2EZZZNS0_12_GLOBAL__N_137scaled_modified_bessel_k0_kernel_cudaERNS_18TensorIteratorBaseEENKUlvE_clEvENKUlvE0_clEvEUlfE_St5arrayIPcLm2EEEEviT0_T1_: ; @_ZN2at6native29vectorized_elementwise_kernelILi2EZZZNS0_12_GLOBAL__N_137scaled_modified_bessel_k0_kernel_cudaERNS_18TensorIteratorBaseEENKUlvE_clEvENKUlvE0_clEvEUlfE_St5arrayIPcLm2EEEEviT0_T1_
; %bb.0:
	s_add_u32 s0, s0, s7
	s_load_dword s7, s[4:5], 0x0
	s_load_dwordx4 s[8:11], s[4:5], 0x8
	s_addc_u32 s1, s1, 0
	s_lshl_b32 s4, s6, 10
	s_mov_b64 s[12:13], -1
	s_waitcnt lgkmcnt(0)
	s_sub_i32 s7, s7, s4
	s_cmpk_gt_i32 s7, 0x3ff
	s_mov_b32 s32, 0
	s_cbranch_scc1 .LBB15_3
; %bb.1:
	s_and_b64 vcc, exec, s[12:13]
	s_cbranch_vccnz .LBB15_36
.LBB15_2:
	s_endpgm
.LBB15_3:
	s_ashr_i32 s5, s4, 31
	s_lshl_b64 s[12:13], s[4:5], 2
	s_add_u32 s4, s10, s12
	s_addc_u32 s5, s11, s13
	v_lshlrev_b32_e32 v7, 3, v0
	global_load_dwordx2 v[5:6], v7, s[4:5]
	global_load_dwordx2 v[3:4], v7, s[4:5] offset:2048
	v_mov_b32_e32 v2, 0x7f800000
	v_mov_b32_e32 v1, 0x7f800000
	s_waitcnt vmcnt(1)
	v_cmp_neq_f32_e32 vcc, 0, v5
	s_and_saveexec_b64 s[14:15], vcc
	s_cbranch_execz .LBB15_11
; %bb.4:
	v_cmp_ngt_f32_e32 vcc, 0, v5
	v_mov_b32_e32 v1, 0x7fc00000
	s_and_saveexec_b64 s[16:17], vcc
	s_cbranch_execz .LBB15_10
; %bb.5:
	v_cmp_ge_f32_e32 vcc, 2.0, v5
	s_and_saveexec_b64 s[4:5], vcc
	s_xor_b64 s[18:19], exec, s[4:5]
	s_cbranch_execz .LBB15_7
; %bb.6:
	v_fma_f32 v1, v5, v5, -2.0
	v_mov_b32_e32 v8, 0x293fd856
	v_fmac_f32_e32 v8, 0x251e770f, v1
	v_mov_b32_e32 v9, 0xa51e770f
	v_fmac_f32_e32 v9, v1, v8
	v_add_f32_e32 v9, 0x2d3612e2, v9
	v_fma_f32 v8, v1, v9, -v8
	v_add_f32_e32 v8, 0x3102e09b, v8
	v_fma_f32 v9, v1, v8, -v9
	;; [unrolled: 2-line block ×7, first 2 shown]
	v_mul_f32_e32 v9, 0.5, v5
	s_mov_b32 s4, 0x800000
	v_cmp_gt_f32_e32 vcc, s4, v9
	v_cndmask_b32_e64 v10, 0, 32, vcc
	v_ldexp_f32 v9, v9, v10
	v_log_f32_e32 v9, v9
	v_add_f32_e32 v1, 0xbf090b37, v1
	v_sub_f32_e32 v1, v1, v8
	s_mov_b32 s4, 0x3f317217
	v_mul_f32_e32 v8, 0x3f317217, v9
	v_fma_f32 v8, v9, s4, -v8
	v_fmac_f32_e32 v8, 0x3377d1cf, v9
	s_mov_b32 s4, 0x7f800000
	v_fmac_f32_e32 v8, 0x3f317217, v9
	v_cmp_lt_f32_e64 s[4:5], |v9|, s4
	v_cndmask_b32_e64 v8, v9, v8, s[4:5]
	v_mul_f32_e32 v9, 0x3fb8aa3b, v5
	s_mov_b32 s4, 0x3fb8aa3b
	v_rndne_f32_e32 v10, v9
	v_sub_f32_e32 v11, v9, v10
	v_fma_f32 v9, v5, s4, -v9
	v_fmac_f32_e32 v9, 0x32a5705f, v5
	v_add_f32_e32 v9, v11, v9
	v_exp_f32_e32 v9, v9
	v_cvt_i32_f32_e32 v10, v10
	v_mov_b32_e32 v11, 0x41b17218
	s_mov_b32 s4, 0xc2ce8ed0
	v_cndmask_b32_e32 v11, 0, v11, vcc
	v_ldexp_f32 v9, v9, v10
	v_cmp_ngt_f32_e32 vcc, s4, v5
	s_mov_b32 s4, 0x42b17218
	v_cndmask_b32_e32 v9, 0, v9, vcc
	v_mov_b32_e32 v10, 0x7f800000
	v_cmp_nlt_f32_e32 vcc, s4, v5
	v_sub_f32_e32 v8, v8, v11
	v_cndmask_b32_e32 v9, v10, v9, vcc
	v_fma_f32 v10, v5, 0.5, -2.0
	v_mov_b32_e32 v11, 0x24199b15
	v_fmac_f32_e32 v11, 0xa2a2e5b9, v10
	v_mov_b32_e32 v12, 0x22a2e5b9
	v_fmac_f32_e32 v12, v10, v11
	v_add_f32_e32 v12, 0xa58c275c, v12
	v_fma_f32 v11, v10, v12, -v11
	v_add_f32_e32 v11, 0x26f736c5, v11
	v_fma_f32 v12, v10, v11, -v12
	;; [unrolled: 2-line block ×27, first 2 shown]
	v_add_f32_e32 v10, 0x3f2d4275, v10
	v_sub_f32_e32 v10, v10, v11
	v_mul_f32_e32 v10, 0.5, v10
	v_mul_f32_e32 v10, v9, v10
	v_mul_f32_e32 v8, v8, v10
	v_fma_f32 v1, v1, 0.5, -v8
	v_mul_f32_e32 v1, v9, v1
.LBB15_7:
	s_andn2_saveexec_b64 s[18:19], s[18:19]
	s_cbranch_execz .LBB15_9
; %bb.8:
	s_mov_b32 s20, 0x41000000
	v_div_scale_f32 v1, s[4:5], v5, v5, s20
	v_div_scale_f32 v8, vcc, s20, v5, s20
	s_mov_b32 s4, 0xf800000
	v_mul_f32_e32 v9, 0x4f800000, v5
	v_cmp_gt_f32_e64 s[4:5], s4, v5
	v_cndmask_b32_e64 v9, v5, v9, s[4:5]
	v_sqrt_f32_e32 v11, v9
	v_add_u32_e32 v14, 1, v11
	v_fma_f32 v16, -v14, v11, v9
	v_rcp_f32_e32 v10, v1
	v_fma_f32 v12, -v1, v10, 1.0
	v_fmac_f32_e32 v10, v12, v10
	v_mul_f32_e32 v12, v8, v10
	v_fma_f32 v13, -v1, v12, v8
	v_fmac_f32_e32 v12, v13, v10
	v_fma_f32 v1, -v1, v12, v8
	v_div_fmas_f32 v1, v1, v10, v12
	v_mov_b32_e32 v8, 0xa397f665
	v_mov_b32_e32 v10, 0xa2c38d2e
	v_add_u32_e32 v13, -1, v11
	v_fma_f32 v15, -v13, v11, v9
	v_cmp_ge_f32_e32 vcc, 0, v15
	v_cndmask_b32_e32 v11, v11, v13, vcc
	v_cmp_lt_f32_e32 vcc, 0, v16
	v_cndmask_b32_e32 v11, v11, v14, vcc
	v_mov_b32_e32 v12, 0x260
	v_mul_f32_e32 v13, 0x37800000, v11
	v_cndmask_b32_e64 v11, v11, v13, s[4:5]
	v_cmp_class_f32_e32 vcc, v9, v12
	v_cndmask_b32_e32 v9, v11, v9, vcc
	v_div_fixup_f32 v1, v1, v5, s20
	v_add_f32_e32 v1, -2.0, v1
	v_fmac_f32_e32 v8, 0x22c38d2e, v1
	v_fmac_f32_e32 v10, v1, v8
	v_add_f32_e32 v5, 0x24704972, v10
	v_fma_f32 v8, v1, v5, -v8
	v_add_f32_e32 v8, 0xa5417ca4, v8
	v_fma_f32 v5, v1, v8, -v5
	;; [unrolled: 2-line block ×22, first 2 shown]
	v_add_f32_e32 v1, 0x401c2ded, v1
	v_sub_f32_e32 v1, v1, v5
	v_mul_f32_e32 v1, 0.5, v1
	v_div_scale_f32 v5, s[4:5], v9, v9, v1
	v_div_scale_f32 v8, vcc, v1, v9, v1
	v_rcp_f32_e32 v10, v5
	v_fma_f32 v11, -v5, v10, 1.0
	v_fmac_f32_e32 v10, v11, v10
	v_mul_f32_e32 v11, v8, v10
	v_fma_f32 v12, -v5, v11, v8
	v_fmac_f32_e32 v11, v12, v10
	v_fma_f32 v5, -v5, v11, v8
	v_div_fmas_f32 v5, v5, v10, v11
	v_div_fixup_f32 v1, v5, v9, v1
.LBB15_9:
	s_or_b64 exec, exec, s[18:19]
.LBB15_10:
	s_or_b64 exec, exec, s[16:17]
.LBB15_11:
	s_or_b64 exec, exec, s[14:15]
	v_cmp_neq_f32_e32 vcc, 0, v6
	s_and_saveexec_b64 s[14:15], vcc
	s_cbranch_execz .LBB15_19
; %bb.12:
	v_cmp_ngt_f32_e32 vcc, 0, v6
	v_mov_b32_e32 v2, 0x7fc00000
	s_and_saveexec_b64 s[16:17], vcc
	s_cbranch_execz .LBB15_18
; %bb.13:
	v_cmp_ge_f32_e32 vcc, 2.0, v6
	s_and_saveexec_b64 s[4:5], vcc
	s_xor_b64 s[18:19], exec, s[4:5]
	s_cbranch_execz .LBB15_15
; %bb.14:
	v_fma_f32 v2, v6, v6, -2.0
	v_mov_b32_e32 v5, 0x293fd856
	v_fmac_f32_e32 v5, 0x251e770f, v2
	v_mov_b32_e32 v8, 0xa51e770f
	v_fmac_f32_e32 v8, v2, v5
	v_add_f32_e32 v8, 0x2d3612e2, v8
	v_fma_f32 v5, v2, v8, -v5
	v_add_f32_e32 v5, 0x3102e09b, v5
	v_fma_f32 v8, v2, v5, -v8
	;; [unrolled: 2-line block ×7, first 2 shown]
	v_mul_f32_e32 v8, 0.5, v6
	s_mov_b32 s4, 0x800000
	v_cmp_gt_f32_e32 vcc, s4, v8
	v_cndmask_b32_e64 v9, 0, 32, vcc
	v_ldexp_f32 v8, v8, v9
	v_log_f32_e32 v8, v8
	v_add_f32_e32 v2, 0xbf090b37, v2
	v_sub_f32_e32 v2, v2, v5
	s_mov_b32 s4, 0x3f317217
	v_mul_f32_e32 v5, 0x3f317217, v8
	v_fma_f32 v5, v8, s4, -v5
	v_fmac_f32_e32 v5, 0x3377d1cf, v8
	s_mov_b32 s4, 0x7f800000
	v_fmac_f32_e32 v5, 0x3f317217, v8
	v_cmp_lt_f32_e64 s[4:5], |v8|, s4
	v_cndmask_b32_e64 v5, v8, v5, s[4:5]
	v_mul_f32_e32 v8, 0x3fb8aa3b, v6
	s_mov_b32 s4, 0x3fb8aa3b
	v_rndne_f32_e32 v9, v8
	v_sub_f32_e32 v10, v8, v9
	v_fma_f32 v8, v6, s4, -v8
	v_fmac_f32_e32 v8, 0x32a5705f, v6
	v_add_f32_e32 v8, v10, v8
	v_exp_f32_e32 v8, v8
	v_cvt_i32_f32_e32 v9, v9
	v_mov_b32_e32 v10, 0x41b17218
	s_mov_b32 s4, 0xc2ce8ed0
	v_cndmask_b32_e32 v10, 0, v10, vcc
	v_ldexp_f32 v8, v8, v9
	v_cmp_ngt_f32_e32 vcc, s4, v6
	s_mov_b32 s4, 0x42b17218
	v_cndmask_b32_e32 v8, 0, v8, vcc
	v_mov_b32_e32 v9, 0x7f800000
	v_cmp_nlt_f32_e32 vcc, s4, v6
	v_cndmask_b32_e32 v8, v9, v8, vcc
	v_fma_f32 v6, v6, 0.5, -2.0
	v_mov_b32_e32 v9, 0x24199b15
	v_sub_f32_e32 v5, v5, v10
	v_fmac_f32_e32 v9, 0xa2a2e5b9, v6
	v_mov_b32_e32 v10, 0x22a2e5b9
	v_fmac_f32_e32 v10, v6, v9
	v_add_f32_e32 v10, 0xa58c275c, v10
	v_fma_f32 v9, v6, v10, -v9
	v_add_f32_e32 v9, 0x26f736c5, v9
	v_fma_f32 v10, v6, v9, -v10
	;; [unrolled: 2-line block ×27, first 2 shown]
	v_add_f32_e32 v6, 0x3f2d4275, v6
	v_sub_f32_e32 v6, v6, v9
	v_mul_f32_e32 v6, 0.5, v6
	v_mul_f32_e32 v6, v8, v6
	v_mul_f32_e32 v5, v5, v6
	v_fma_f32 v2, v2, 0.5, -v5
	v_mul_f32_e32 v2, v8, v2
                                        ; implicit-def: $vgpr5_vgpr6
.LBB15_15:
	s_andn2_saveexec_b64 s[18:19], s[18:19]
	s_cbranch_execz .LBB15_17
; %bb.16:
	s_mov_b32 s20, 0x41000000
	v_div_scale_f32 v2, s[4:5], v6, v6, s20
	v_div_scale_f32 v5, vcc, s20, v6, s20
	s_mov_b32 s4, 0xf800000
	v_mul_f32_e32 v8, 0x4f800000, v6
	v_cmp_gt_f32_e64 s[4:5], s4, v6
	v_cndmask_b32_e64 v8, v6, v8, s[4:5]
	v_sqrt_f32_e32 v10, v8
	v_add_u32_e32 v13, 1, v10
	v_fma_f32 v15, -v13, v10, v8
	v_rcp_f32_e32 v9, v2
	v_fma_f32 v11, -v2, v9, 1.0
	v_fmac_f32_e32 v9, v11, v9
	v_mul_f32_e32 v11, v5, v9
	v_fma_f32 v12, -v2, v11, v5
	v_fmac_f32_e32 v11, v12, v9
	v_fma_f32 v2, -v2, v11, v5
	v_div_fmas_f32 v2, v2, v9, v11
	v_mov_b32_e32 v5, 0xa397f665
	v_mov_b32_e32 v9, 0xa2c38d2e
	v_add_u32_e32 v12, -1, v10
	v_fma_f32 v14, -v12, v10, v8
	v_cmp_ge_f32_e32 vcc, 0, v14
	v_cndmask_b32_e32 v10, v10, v12, vcc
	v_cmp_lt_f32_e32 vcc, 0, v15
	v_cndmask_b32_e32 v10, v10, v13, vcc
	v_mov_b32_e32 v11, 0x260
	v_mul_f32_e32 v12, 0x37800000, v10
	v_cndmask_b32_e64 v10, v10, v12, s[4:5]
	v_cmp_class_f32_e32 vcc, v8, v11
	v_cndmask_b32_e32 v8, v10, v8, vcc
	v_div_fixup_f32 v2, v2, v6, s20
	v_add_f32_e32 v2, -2.0, v2
	v_fmac_f32_e32 v5, 0x22c38d2e, v2
	v_fmac_f32_e32 v9, v2, v5
	v_add_f32_e32 v6, 0x24704972, v9
	v_fma_f32 v5, v2, v6, -v5
	v_add_f32_e32 v5, 0xa5417ca4, v5
	v_fma_f32 v6, v2, v5, -v6
	;; [unrolled: 2-line block ×22, first 2 shown]
	v_add_f32_e32 v2, 0x401c2ded, v2
	v_sub_f32_e32 v2, v2, v6
	v_mul_f32_e32 v2, 0.5, v2
	v_div_scale_f32 v5, s[4:5], v8, v8, v2
	v_div_scale_f32 v6, vcc, v2, v8, v2
	v_rcp_f32_e32 v9, v5
	v_fma_f32 v10, -v5, v9, 1.0
	v_fmac_f32_e32 v9, v10, v9
	v_mul_f32_e32 v10, v6, v9
	v_fma_f32 v11, -v5, v10, v6
	v_fmac_f32_e32 v10, v11, v9
	v_fma_f32 v5, -v5, v10, v6
	v_div_fmas_f32 v5, v5, v9, v10
	v_div_fixup_f32 v2, v5, v8, v2
.LBB15_17:
	s_or_b64 exec, exec, s[18:19]
.LBB15_18:
	s_or_b64 exec, exec, s[16:17]
.LBB15_19:
	s_or_b64 exec, exec, s[14:15]
	s_waitcnt vmcnt(0)
	v_cmp_neq_f32_e32 vcc, 0, v3
	v_mov_b32_e32 v6, 0x7f800000
	v_mov_b32_e32 v5, 0x7f800000
	s_and_saveexec_b64 s[14:15], vcc
	s_cbranch_execz .LBB15_27
; %bb.20:
	v_cmp_ngt_f32_e32 vcc, 0, v3
	v_mov_b32_e32 v5, 0x7fc00000
	s_and_saveexec_b64 s[16:17], vcc
	s_cbranch_execz .LBB15_26
; %bb.21:
	v_cmp_ge_f32_e32 vcc, 2.0, v3
	s_and_saveexec_b64 s[4:5], vcc
	s_xor_b64 s[18:19], exec, s[4:5]
	s_cbranch_execz .LBB15_23
; %bb.22:
	v_fma_f32 v5, v3, v3, -2.0
	v_mov_b32_e32 v8, 0x293fd856
	v_fmac_f32_e32 v8, 0x251e770f, v5
	v_mov_b32_e32 v9, 0xa51e770f
	v_fmac_f32_e32 v9, v5, v8
	v_add_f32_e32 v9, 0x2d3612e2, v9
	v_fma_f32 v8, v5, v9, -v8
	v_add_f32_e32 v8, 0x3102e09b, v8
	v_fma_f32 v9, v5, v8, -v9
	;; [unrolled: 2-line block ×7, first 2 shown]
	v_mul_f32_e32 v9, 0.5, v3
	s_mov_b32 s4, 0x800000
	v_cmp_gt_f32_e32 vcc, s4, v9
	v_cndmask_b32_e64 v10, 0, 32, vcc
	v_ldexp_f32 v9, v9, v10
	v_log_f32_e32 v9, v9
	v_add_f32_e32 v5, 0xbf090b37, v5
	v_sub_f32_e32 v5, v5, v8
	s_mov_b32 s4, 0x3f317217
	v_mul_f32_e32 v8, 0x3f317217, v9
	v_fma_f32 v8, v9, s4, -v8
	v_fmac_f32_e32 v8, 0x3377d1cf, v9
	s_mov_b32 s4, 0x7f800000
	v_fmac_f32_e32 v8, 0x3f317217, v9
	v_cmp_lt_f32_e64 s[4:5], |v9|, s4
	v_cndmask_b32_e64 v8, v9, v8, s[4:5]
	v_mul_f32_e32 v9, 0x3fb8aa3b, v3
	s_mov_b32 s4, 0x3fb8aa3b
	v_rndne_f32_e32 v10, v9
	v_sub_f32_e32 v11, v9, v10
	v_fma_f32 v9, v3, s4, -v9
	v_fmac_f32_e32 v9, 0x32a5705f, v3
	v_add_f32_e32 v9, v11, v9
	v_exp_f32_e32 v9, v9
	v_cvt_i32_f32_e32 v10, v10
	v_mov_b32_e32 v11, 0x41b17218
	s_mov_b32 s4, 0xc2ce8ed0
	v_cndmask_b32_e32 v11, 0, v11, vcc
	v_ldexp_f32 v9, v9, v10
	v_cmp_ngt_f32_e32 vcc, s4, v3
	s_mov_b32 s4, 0x42b17218
	v_cndmask_b32_e32 v9, 0, v9, vcc
	v_mov_b32_e32 v10, 0x7f800000
	v_cmp_nlt_f32_e32 vcc, s4, v3
	v_sub_f32_e32 v8, v8, v11
	v_cndmask_b32_e32 v9, v10, v9, vcc
	v_fma_f32 v10, v3, 0.5, -2.0
	v_mov_b32_e32 v11, 0x24199b15
	v_fmac_f32_e32 v11, 0xa2a2e5b9, v10
	v_mov_b32_e32 v12, 0x22a2e5b9
	v_fmac_f32_e32 v12, v10, v11
	v_add_f32_e32 v12, 0xa58c275c, v12
	v_fma_f32 v11, v10, v12, -v11
	v_add_f32_e32 v11, 0x26f736c5, v11
	v_fma_f32 v12, v10, v11, -v12
	;; [unrolled: 2-line block ×27, first 2 shown]
	v_add_f32_e32 v10, 0x3f2d4275, v10
	v_sub_f32_e32 v10, v10, v11
	v_mul_f32_e32 v10, 0.5, v10
	v_mul_f32_e32 v10, v9, v10
	v_mul_f32_e32 v8, v8, v10
	v_fma_f32 v5, v5, 0.5, -v8
	v_mul_f32_e32 v5, v9, v5
.LBB15_23:
	s_andn2_saveexec_b64 s[18:19], s[18:19]
	s_cbranch_execz .LBB15_25
; %bb.24:
	s_mov_b32 s20, 0x41000000
	v_div_scale_f32 v5, s[4:5], v3, v3, s20
	v_div_scale_f32 v8, vcc, s20, v3, s20
	s_mov_b32 s4, 0xf800000
	v_mul_f32_e32 v9, 0x4f800000, v3
	v_cmp_gt_f32_e64 s[4:5], s4, v3
	v_cndmask_b32_e64 v9, v3, v9, s[4:5]
	v_sqrt_f32_e32 v11, v9
	v_add_u32_e32 v14, 1, v11
	v_fma_f32 v16, -v14, v11, v9
	v_rcp_f32_e32 v10, v5
	v_fma_f32 v12, -v5, v10, 1.0
	v_fmac_f32_e32 v10, v12, v10
	v_mul_f32_e32 v12, v8, v10
	v_fma_f32 v13, -v5, v12, v8
	v_fmac_f32_e32 v12, v13, v10
	v_fma_f32 v5, -v5, v12, v8
	v_div_fmas_f32 v5, v5, v10, v12
	v_mov_b32_e32 v8, 0xa397f665
	v_mov_b32_e32 v10, 0xa2c38d2e
	v_add_u32_e32 v13, -1, v11
	v_fma_f32 v15, -v13, v11, v9
	v_cmp_ge_f32_e32 vcc, 0, v15
	v_cndmask_b32_e32 v11, v11, v13, vcc
	v_cmp_lt_f32_e32 vcc, 0, v16
	v_cndmask_b32_e32 v11, v11, v14, vcc
	v_mov_b32_e32 v12, 0x260
	v_mul_f32_e32 v13, 0x37800000, v11
	v_cndmask_b32_e64 v11, v11, v13, s[4:5]
	v_cmp_class_f32_e32 vcc, v9, v12
	v_cndmask_b32_e32 v9, v11, v9, vcc
	v_div_fixup_f32 v3, v5, v3, s20
	v_add_f32_e32 v3, -2.0, v3
	v_fmac_f32_e32 v8, 0x22c38d2e, v3
	v_fmac_f32_e32 v10, v3, v8
	v_add_f32_e32 v5, 0x24704972, v10
	v_fma_f32 v8, v3, v5, -v8
	v_add_f32_e32 v8, 0xa5417ca4, v8
	v_fma_f32 v5, v3, v8, -v5
	;; [unrolled: 2-line block ×22, first 2 shown]
	v_add_f32_e32 v3, 0x401c2ded, v3
	v_sub_f32_e32 v3, v3, v5
	v_mul_f32_e32 v3, 0.5, v3
	v_div_scale_f32 v5, s[4:5], v9, v9, v3
	v_div_scale_f32 v8, vcc, v3, v9, v3
	v_rcp_f32_e32 v10, v5
	v_fma_f32 v11, -v5, v10, 1.0
	v_fmac_f32_e32 v10, v11, v10
	v_mul_f32_e32 v11, v8, v10
	v_fma_f32 v12, -v5, v11, v8
	v_fmac_f32_e32 v11, v12, v10
	v_fma_f32 v5, -v5, v11, v8
	v_div_fmas_f32 v5, v5, v10, v11
	v_div_fixup_f32 v5, v5, v9, v3
.LBB15_25:
	s_or_b64 exec, exec, s[18:19]
.LBB15_26:
	s_or_b64 exec, exec, s[16:17]
.LBB15_27:
	s_or_b64 exec, exec, s[14:15]
	v_cmp_neq_f32_e32 vcc, 0, v4
	s_and_saveexec_b64 s[14:15], vcc
	s_cbranch_execz .LBB15_35
; %bb.28:
	v_cmp_ngt_f32_e32 vcc, 0, v4
	v_mov_b32_e32 v6, 0x7fc00000
	s_and_saveexec_b64 s[16:17], vcc
	s_cbranch_execz .LBB15_34
; %bb.29:
	v_cmp_ge_f32_e32 vcc, 2.0, v4
	s_and_saveexec_b64 s[4:5], vcc
	s_xor_b64 s[18:19], exec, s[4:5]
	s_cbranch_execz .LBB15_31
; %bb.30:
	v_fma_f32 v3, v4, v4, -2.0
	v_mov_b32_e32 v6, 0x293fd856
	v_fmac_f32_e32 v6, 0x251e770f, v3
	v_mov_b32_e32 v8, 0xa51e770f
	v_fmac_f32_e32 v8, v3, v6
	v_add_f32_e32 v8, 0x2d3612e2, v8
	v_fma_f32 v6, v3, v8, -v6
	v_add_f32_e32 v6, 0x3102e09b, v6
	v_fma_f32 v8, v3, v6, -v8
	;; [unrolled: 2-line block ×7, first 2 shown]
	v_mul_f32_e32 v8, 0.5, v4
	s_mov_b32 s4, 0x800000
	v_cmp_gt_f32_e32 vcc, s4, v8
	v_cndmask_b32_e64 v9, 0, 32, vcc
	v_ldexp_f32 v8, v8, v9
	v_log_f32_e32 v8, v8
	v_add_f32_e32 v3, 0xbf090b37, v3
	v_sub_f32_e32 v3, v3, v6
	s_mov_b32 s4, 0x3f317217
	v_mul_f32_e32 v6, 0x3f317217, v8
	v_fma_f32 v6, v8, s4, -v6
	v_fmac_f32_e32 v6, 0x3377d1cf, v8
	s_mov_b32 s4, 0x7f800000
	v_fmac_f32_e32 v6, 0x3f317217, v8
	v_cmp_lt_f32_e64 s[4:5], |v8|, s4
	v_cndmask_b32_e64 v6, v8, v6, s[4:5]
	v_mul_f32_e32 v8, 0x3fb8aa3b, v4
	s_mov_b32 s4, 0x3fb8aa3b
	v_rndne_f32_e32 v9, v8
	v_sub_f32_e32 v10, v8, v9
	v_fma_f32 v8, v4, s4, -v8
	v_fmac_f32_e32 v8, 0x32a5705f, v4
	v_add_f32_e32 v8, v10, v8
	v_exp_f32_e32 v8, v8
	v_cvt_i32_f32_e32 v9, v9
	v_mov_b32_e32 v10, 0x41b17218
	s_mov_b32 s4, 0xc2ce8ed0
	v_cndmask_b32_e32 v10, 0, v10, vcc
	v_ldexp_f32 v8, v8, v9
	v_cmp_ngt_f32_e32 vcc, s4, v4
	s_mov_b32 s4, 0x42b17218
	v_cndmask_b32_e32 v8, 0, v8, vcc
	v_mov_b32_e32 v9, 0x7f800000
	v_cmp_nlt_f32_e32 vcc, s4, v4
	v_cndmask_b32_e32 v8, v9, v8, vcc
	v_fma_f32 v4, v4, 0.5, -2.0
	v_mov_b32_e32 v9, 0x24199b15
	v_sub_f32_e32 v6, v6, v10
	v_fmac_f32_e32 v9, 0xa2a2e5b9, v4
	v_mov_b32_e32 v10, 0x22a2e5b9
	v_fmac_f32_e32 v10, v4, v9
	v_add_f32_e32 v10, 0xa58c275c, v10
	v_fma_f32 v9, v4, v10, -v9
	v_add_f32_e32 v9, 0x26f736c5, v9
	v_fma_f32 v10, v4, v9, -v10
	;; [unrolled: 2-line block ×27, first 2 shown]
	v_add_f32_e32 v4, 0x3f2d4275, v4
	v_sub_f32_e32 v4, v4, v9
	v_mul_f32_e32 v4, 0.5, v4
	v_mul_f32_e32 v4, v8, v4
	v_mul_f32_e32 v4, v6, v4
	v_fma_f32 v3, v3, 0.5, -v4
	v_mul_f32_e32 v6, v8, v3
                                        ; implicit-def: $vgpr3_vgpr4
.LBB15_31:
	s_andn2_saveexec_b64 s[18:19], s[18:19]
	s_cbranch_execz .LBB15_33
; %bb.32:
	s_mov_b32 s20, 0x41000000
	v_div_scale_f32 v3, s[4:5], v4, v4, s20
	v_div_scale_f32 v6, vcc, s20, v4, s20
	s_mov_b32 s4, 0xf800000
	v_mul_f32_e32 v8, 0x4f800000, v4
	v_cmp_gt_f32_e64 s[4:5], s4, v4
	v_cndmask_b32_e64 v8, v4, v8, s[4:5]
	v_sqrt_f32_e32 v10, v8
	v_add_u32_e32 v13, 1, v10
	v_fma_f32 v15, -v13, v10, v8
	v_rcp_f32_e32 v9, v3
	v_fma_f32 v11, -v3, v9, 1.0
	v_fmac_f32_e32 v9, v11, v9
	v_mul_f32_e32 v11, v6, v9
	v_fma_f32 v12, -v3, v11, v6
	v_fmac_f32_e32 v11, v12, v9
	v_fma_f32 v3, -v3, v11, v6
	v_div_fmas_f32 v3, v3, v9, v11
	v_mov_b32_e32 v6, 0xa397f665
	v_mov_b32_e32 v9, 0xa2c38d2e
	v_add_u32_e32 v12, -1, v10
	v_fma_f32 v14, -v12, v10, v8
	v_cmp_ge_f32_e32 vcc, 0, v14
	v_cndmask_b32_e32 v10, v10, v12, vcc
	v_cmp_lt_f32_e32 vcc, 0, v15
	v_cndmask_b32_e32 v10, v10, v13, vcc
	v_mov_b32_e32 v11, 0x260
	v_mul_f32_e32 v12, 0x37800000, v10
	v_cndmask_b32_e64 v10, v10, v12, s[4:5]
	v_cmp_class_f32_e32 vcc, v8, v11
	v_cndmask_b32_e32 v8, v10, v8, vcc
	v_div_fixup_f32 v3, v3, v4, s20
	v_add_f32_e32 v3, -2.0, v3
	v_fmac_f32_e32 v6, 0x22c38d2e, v3
	v_fmac_f32_e32 v9, v3, v6
	v_add_f32_e32 v4, 0x24704972, v9
	v_fma_f32 v6, v3, v4, -v6
	v_add_f32_e32 v6, 0xa5417ca4, v6
	v_fma_f32 v4, v3, v6, -v4
	v_add_f32_e32 v4, 0x261edfcb, v4
	v_fma_f32 v6, v3, v4, -v6
	v_add_f32_e32 v6, 0xa7053487, v6
	v_fma_f32 v4, v3, v6, -v4
	v_add_f32_e32 v4, 0x27e46ce2, v4
	v_fma_f32 v6, v3, v4, -v6
	v_add_f32_e32 v6, 0xa8c8a2f6, v6
	v_fma_f32 v4, v3, v6, -v4
	v_add_f32_e32 v4, 0x29b4e276, v4
	v_fma_f32 v6, v3, v4, -v6
	v_add_f32_e32 v6, 0xaaa7c3b9, v6
	v_fma_f32 v4, v3, v6, -v4
	v_add_f32_e32 v4, 0x2ba07d19, v4
	v_fma_f32 v6, v3, v4, -v6
	v_add_f32_e32 v6, 0xac9ed7e2, v6
	v_fma_f32 v4, v3, v6, -v4
	v_add_f32_e32 v4, 0x2da34042, v4
	v_fma_f32 v6, v3, v4, -v6
	v_add_f32_e32 v6, 0xaeaefcaf, v6
	v_fma_f32 v4, v3, v6, -v4
	v_add_f32_e32 v4, 0x2fc4ab64, v4
	v_fma_f32 v6, v3, v4, -v6
	v_add_f32_e32 v6, 0xb0e94eb0, v6
	v_fma_f32 v4, v3, v6, -v4
	v_add_f32_e32 v4, 0x32134d00, v4
	v_fma_f32 v6, v3, v4, -v6
	v_add_f32_e32 v6, 0xb3482aa1, v6
	v_fma_f32 v4, v3, v6, -v4
	v_add_f32_e32 v4, 0x34948acc, v4
	v_fma_f32 v6, v3, v4, -v6
	v_add_f32_e32 v6, 0xb5f5daa4, v6
	v_fma_f32 v4, v3, v6, -v4
	v_add_f32_e32 v4, 0x376a09fe, v4
	v_fma_f32 v6, v3, v4, -v6
	v_add_f32_e32 v6, 0xb906bcbf, v6
	v_fma_f32 v4, v3, v6, -v4
	v_add_f32_e32 v4, 0x3acdc490, v4
	v_fma_f32 v6, v3, v4, -v6
	v_add_f32_e32 v6, 0xbd00cfb9, v6
	v_fma_f32 v3, v3, v6, -v4
	v_add_f32_e32 v3, 0x401c2ded, v3
	v_sub_f32_e32 v3, v3, v4
	v_mul_f32_e32 v3, 0.5, v3
	v_div_scale_f32 v4, s[4:5], v8, v8, v3
	v_div_scale_f32 v6, vcc, v3, v8, v3
	v_rcp_f32_e32 v9, v4
	v_fma_f32 v10, -v4, v9, 1.0
	v_fmac_f32_e32 v9, v10, v9
	v_mul_f32_e32 v10, v6, v9
	v_fma_f32 v11, -v4, v10, v6
	v_fmac_f32_e32 v10, v11, v9
	v_fma_f32 v4, -v4, v10, v6
	v_div_fmas_f32 v4, v4, v9, v10
	v_div_fixup_f32 v6, v4, v8, v3
.LBB15_33:
	s_or_b64 exec, exec, s[18:19]
.LBB15_34:
	s_or_b64 exec, exec, s[16:17]
.LBB15_35:
	s_or_b64 exec, exec, s[14:15]
	s_add_u32 s4, s8, s12
	s_addc_u32 s5, s9, s13
	global_store_dwordx2 v7, v[1:2], s[4:5]
	global_store_dwordx2 v7, v[5:6], s[4:5] offset:2048
	s_branch .LBB15_2
.LBB15_36:
	s_getpc_b64 s[4:5]
	s_add_u32 s4, s4, _ZN2at6native25elementwise_kernel_helperILb0EZZZNS0_12_GLOBAL__N_137scaled_modified_bessel_k0_kernel_cudaERNS_18TensorIteratorBaseEENKUlvE_clEvENKUlvE0_clEvEUlfE_NS0_6memory8policies11unroll_baseILi256ESt5arrayIPcLm2EE23TrivialOffsetCalculatorILi1EjESF_NS8_15LoadWithoutCastENS8_16StoreWithoutCastELi4ELi1EEEEEvT0_T1_@rel32@lo+4
	s_addc_u32 s5, s5, _ZN2at6native25elementwise_kernel_helperILb0EZZZNS0_12_GLOBAL__N_137scaled_modified_bessel_k0_kernel_cudaERNS_18TensorIteratorBaseEENKUlvE_clEvENKUlvE0_clEvEUlfE_NS0_6memory8policies11unroll_baseILi256ESt5arrayIPcLm2EE23TrivialOffsetCalculatorILi1EjESF_NS8_15LoadWithoutCastENS8_16StoreWithoutCastELi4ELi1EEEEEvT0_T1_@rel32@hi+12
	s_mov_b32 s12, s6
	v_mov_b32_e32 v31, v0
	v_mov_b32_e32 v0, s8
	;; [unrolled: 1-line block ×6, first 2 shown]
	s_swappc_b64 s[30:31], s[4:5]
	s_endpgm
	.section	.rodata,"a",@progbits
	.p2align	6, 0x0
	.amdhsa_kernel _ZN2at6native29vectorized_elementwise_kernelILi2EZZZNS0_12_GLOBAL__N_137scaled_modified_bessel_k0_kernel_cudaERNS_18TensorIteratorBaseEENKUlvE_clEvENKUlvE0_clEvEUlfE_St5arrayIPcLm2EEEEviT0_T1_
		.amdhsa_group_segment_fixed_size 0
		.amdhsa_private_segment_fixed_size 0
		.amdhsa_kernarg_size 24
		.amdhsa_user_sgpr_count 6
		.amdhsa_user_sgpr_private_segment_buffer 1
		.amdhsa_user_sgpr_dispatch_ptr 0
		.amdhsa_user_sgpr_queue_ptr 0
		.amdhsa_user_sgpr_kernarg_segment_ptr 1
		.amdhsa_user_sgpr_dispatch_id 0
		.amdhsa_user_sgpr_flat_scratch_init 0
		.amdhsa_user_sgpr_private_segment_size 0
		.amdhsa_uses_dynamic_stack 0
		.amdhsa_system_sgpr_private_segment_wavefront_offset 0
		.amdhsa_system_sgpr_workgroup_id_x 1
		.amdhsa_system_sgpr_workgroup_id_y 0
		.amdhsa_system_sgpr_workgroup_id_z 0
		.amdhsa_system_sgpr_workgroup_info 0
		.amdhsa_system_vgpr_workitem_id 0
		.amdhsa_next_free_vgpr 32
		.amdhsa_next_free_sgpr 33
		.amdhsa_reserve_vcc 1
		.amdhsa_reserve_flat_scratch 0
		.amdhsa_float_round_mode_32 0
		.amdhsa_float_round_mode_16_64 0
		.amdhsa_float_denorm_mode_32 3
		.amdhsa_float_denorm_mode_16_64 3
		.amdhsa_dx10_clamp 1
		.amdhsa_ieee_mode 1
		.amdhsa_fp16_overflow 0
		.amdhsa_exception_fp_ieee_invalid_op 0
		.amdhsa_exception_fp_denorm_src 0
		.amdhsa_exception_fp_ieee_div_zero 0
		.amdhsa_exception_fp_ieee_overflow 0
		.amdhsa_exception_fp_ieee_underflow 0
		.amdhsa_exception_fp_ieee_inexact 0
		.amdhsa_exception_int_div_zero 0
	.end_amdhsa_kernel
	.section	.text._ZN2at6native29vectorized_elementwise_kernelILi2EZZZNS0_12_GLOBAL__N_137scaled_modified_bessel_k0_kernel_cudaERNS_18TensorIteratorBaseEENKUlvE_clEvENKUlvE0_clEvEUlfE_St5arrayIPcLm2EEEEviT0_T1_,"axG",@progbits,_ZN2at6native29vectorized_elementwise_kernelILi2EZZZNS0_12_GLOBAL__N_137scaled_modified_bessel_k0_kernel_cudaERNS_18TensorIteratorBaseEENKUlvE_clEvENKUlvE0_clEvEUlfE_St5arrayIPcLm2EEEEviT0_T1_,comdat
.Lfunc_end15:
	.size	_ZN2at6native29vectorized_elementwise_kernelILi2EZZZNS0_12_GLOBAL__N_137scaled_modified_bessel_k0_kernel_cudaERNS_18TensorIteratorBaseEENKUlvE_clEvENKUlvE0_clEvEUlfE_St5arrayIPcLm2EEEEviT0_T1_, .Lfunc_end15-_ZN2at6native29vectorized_elementwise_kernelILi2EZZZNS0_12_GLOBAL__N_137scaled_modified_bessel_k0_kernel_cudaERNS_18TensorIteratorBaseEENKUlvE_clEvENKUlvE0_clEvEUlfE_St5arrayIPcLm2EEEEviT0_T1_
                                        ; -- End function
	.set _ZN2at6native29vectorized_elementwise_kernelILi2EZZZNS0_12_GLOBAL__N_137scaled_modified_bessel_k0_kernel_cudaERNS_18TensorIteratorBaseEENKUlvE_clEvENKUlvE0_clEvEUlfE_St5arrayIPcLm2EEEEviT0_T1_.num_vgpr, max(32, .L_ZN2at6native25elementwise_kernel_helperILb0EZZZNS0_12_GLOBAL__N_137scaled_modified_bessel_k0_kernel_cudaERNS_18TensorIteratorBaseEENKUlvE_clEvENKUlvE0_clEvEUlfE_NS0_6memory8policies11unroll_baseILi256ESt5arrayIPcLm2EE23TrivialOffsetCalculatorILi1EjESF_NS8_15LoadWithoutCastENS8_16StoreWithoutCastELi4ELi1EEEEEvT0_T1_.num_vgpr)
	.set _ZN2at6native29vectorized_elementwise_kernelILi2EZZZNS0_12_GLOBAL__N_137scaled_modified_bessel_k0_kernel_cudaERNS_18TensorIteratorBaseEENKUlvE_clEvENKUlvE0_clEvEUlfE_St5arrayIPcLm2EEEEviT0_T1_.num_agpr, max(0, .L_ZN2at6native25elementwise_kernel_helperILb0EZZZNS0_12_GLOBAL__N_137scaled_modified_bessel_k0_kernel_cudaERNS_18TensorIteratorBaseEENKUlvE_clEvENKUlvE0_clEvEUlfE_NS0_6memory8policies11unroll_baseILi256ESt5arrayIPcLm2EE23TrivialOffsetCalculatorILi1EjESF_NS8_15LoadWithoutCastENS8_16StoreWithoutCastELi4ELi1EEEEEvT0_T1_.num_agpr)
	.set _ZN2at6native29vectorized_elementwise_kernelILi2EZZZNS0_12_GLOBAL__N_137scaled_modified_bessel_k0_kernel_cudaERNS_18TensorIteratorBaseEENKUlvE_clEvENKUlvE0_clEvEUlfE_St5arrayIPcLm2EEEEviT0_T1_.numbered_sgpr, max(33, .L_ZN2at6native25elementwise_kernel_helperILb0EZZZNS0_12_GLOBAL__N_137scaled_modified_bessel_k0_kernel_cudaERNS_18TensorIteratorBaseEENKUlvE_clEvENKUlvE0_clEvEUlfE_NS0_6memory8policies11unroll_baseILi256ESt5arrayIPcLm2EE23TrivialOffsetCalculatorILi1EjESF_NS8_15LoadWithoutCastENS8_16StoreWithoutCastELi4ELi1EEEEEvT0_T1_.numbered_sgpr)
	.set _ZN2at6native29vectorized_elementwise_kernelILi2EZZZNS0_12_GLOBAL__N_137scaled_modified_bessel_k0_kernel_cudaERNS_18TensorIteratorBaseEENKUlvE_clEvENKUlvE0_clEvEUlfE_St5arrayIPcLm2EEEEviT0_T1_.num_named_barrier, max(0, .L_ZN2at6native25elementwise_kernel_helperILb0EZZZNS0_12_GLOBAL__N_137scaled_modified_bessel_k0_kernel_cudaERNS_18TensorIteratorBaseEENKUlvE_clEvENKUlvE0_clEvEUlfE_NS0_6memory8policies11unroll_baseILi256ESt5arrayIPcLm2EE23TrivialOffsetCalculatorILi1EjESF_NS8_15LoadWithoutCastENS8_16StoreWithoutCastELi4ELi1EEEEEvT0_T1_.num_named_barrier)
	.set _ZN2at6native29vectorized_elementwise_kernelILi2EZZZNS0_12_GLOBAL__N_137scaled_modified_bessel_k0_kernel_cudaERNS_18TensorIteratorBaseEENKUlvE_clEvENKUlvE0_clEvEUlfE_St5arrayIPcLm2EEEEviT0_T1_.private_seg_size, 0+max(.L_ZN2at6native25elementwise_kernel_helperILb0EZZZNS0_12_GLOBAL__N_137scaled_modified_bessel_k0_kernel_cudaERNS_18TensorIteratorBaseEENKUlvE_clEvENKUlvE0_clEvEUlfE_NS0_6memory8policies11unroll_baseILi256ESt5arrayIPcLm2EE23TrivialOffsetCalculatorILi1EjESF_NS8_15LoadWithoutCastENS8_16StoreWithoutCastELi4ELi1EEEEEvT0_T1_.private_seg_size)
	.set _ZN2at6native29vectorized_elementwise_kernelILi2EZZZNS0_12_GLOBAL__N_137scaled_modified_bessel_k0_kernel_cudaERNS_18TensorIteratorBaseEENKUlvE_clEvENKUlvE0_clEvEUlfE_St5arrayIPcLm2EEEEviT0_T1_.uses_vcc, or(1, .L_ZN2at6native25elementwise_kernel_helperILb0EZZZNS0_12_GLOBAL__N_137scaled_modified_bessel_k0_kernel_cudaERNS_18TensorIteratorBaseEENKUlvE_clEvENKUlvE0_clEvEUlfE_NS0_6memory8policies11unroll_baseILi256ESt5arrayIPcLm2EE23TrivialOffsetCalculatorILi1EjESF_NS8_15LoadWithoutCastENS8_16StoreWithoutCastELi4ELi1EEEEEvT0_T1_.uses_vcc)
	.set _ZN2at6native29vectorized_elementwise_kernelILi2EZZZNS0_12_GLOBAL__N_137scaled_modified_bessel_k0_kernel_cudaERNS_18TensorIteratorBaseEENKUlvE_clEvENKUlvE0_clEvEUlfE_St5arrayIPcLm2EEEEviT0_T1_.uses_flat_scratch, or(0, .L_ZN2at6native25elementwise_kernel_helperILb0EZZZNS0_12_GLOBAL__N_137scaled_modified_bessel_k0_kernel_cudaERNS_18TensorIteratorBaseEENKUlvE_clEvENKUlvE0_clEvEUlfE_NS0_6memory8policies11unroll_baseILi256ESt5arrayIPcLm2EE23TrivialOffsetCalculatorILi1EjESF_NS8_15LoadWithoutCastENS8_16StoreWithoutCastELi4ELi1EEEEEvT0_T1_.uses_flat_scratch)
	.set _ZN2at6native29vectorized_elementwise_kernelILi2EZZZNS0_12_GLOBAL__N_137scaled_modified_bessel_k0_kernel_cudaERNS_18TensorIteratorBaseEENKUlvE_clEvENKUlvE0_clEvEUlfE_St5arrayIPcLm2EEEEviT0_T1_.has_dyn_sized_stack, or(0, .L_ZN2at6native25elementwise_kernel_helperILb0EZZZNS0_12_GLOBAL__N_137scaled_modified_bessel_k0_kernel_cudaERNS_18TensorIteratorBaseEENKUlvE_clEvENKUlvE0_clEvEUlfE_NS0_6memory8policies11unroll_baseILi256ESt5arrayIPcLm2EE23TrivialOffsetCalculatorILi1EjESF_NS8_15LoadWithoutCastENS8_16StoreWithoutCastELi4ELi1EEEEEvT0_T1_.has_dyn_sized_stack)
	.set _ZN2at6native29vectorized_elementwise_kernelILi2EZZZNS0_12_GLOBAL__N_137scaled_modified_bessel_k0_kernel_cudaERNS_18TensorIteratorBaseEENKUlvE_clEvENKUlvE0_clEvEUlfE_St5arrayIPcLm2EEEEviT0_T1_.has_recursion, or(0, .L_ZN2at6native25elementwise_kernel_helperILb0EZZZNS0_12_GLOBAL__N_137scaled_modified_bessel_k0_kernel_cudaERNS_18TensorIteratorBaseEENKUlvE_clEvENKUlvE0_clEvEUlfE_NS0_6memory8policies11unroll_baseILi256ESt5arrayIPcLm2EE23TrivialOffsetCalculatorILi1EjESF_NS8_15LoadWithoutCastENS8_16StoreWithoutCastELi4ELi1EEEEEvT0_T1_.has_recursion)
	.set _ZN2at6native29vectorized_elementwise_kernelILi2EZZZNS0_12_GLOBAL__N_137scaled_modified_bessel_k0_kernel_cudaERNS_18TensorIteratorBaseEENKUlvE_clEvENKUlvE0_clEvEUlfE_St5arrayIPcLm2EEEEviT0_T1_.has_indirect_call, or(0, .L_ZN2at6native25elementwise_kernel_helperILb0EZZZNS0_12_GLOBAL__N_137scaled_modified_bessel_k0_kernel_cudaERNS_18TensorIteratorBaseEENKUlvE_clEvENKUlvE0_clEvEUlfE_NS0_6memory8policies11unroll_baseILi256ESt5arrayIPcLm2EE23TrivialOffsetCalculatorILi1EjESF_NS8_15LoadWithoutCastENS8_16StoreWithoutCastELi4ELi1EEEEEvT0_T1_.has_indirect_call)
	.section	.AMDGPU.csdata,"",@progbits
; Kernel info:
; codeLenInByte = 6656
; TotalNumSgprs: 37
; NumVgprs: 32
; ScratchSize: 0
; MemoryBound: 0
; FloatMode: 240
; IeeeMode: 1
; LDSByteSize: 0 bytes/workgroup (compile time only)
; SGPRBlocks: 4
; VGPRBlocks: 7
; NumSGPRsForWavesPerEU: 37
; NumVGPRsForWavesPerEU: 32
; Occupancy: 8
; WaveLimiterHint : 1
; COMPUTE_PGM_RSRC2:SCRATCH_EN: 0
; COMPUTE_PGM_RSRC2:USER_SGPR: 6
; COMPUTE_PGM_RSRC2:TRAP_HANDLER: 0
; COMPUTE_PGM_RSRC2:TGID_X_EN: 1
; COMPUTE_PGM_RSRC2:TGID_Y_EN: 0
; COMPUTE_PGM_RSRC2:TGID_Z_EN: 0
; COMPUTE_PGM_RSRC2:TIDIG_COMP_CNT: 0
	.section	.text._ZN2at6native27unrolled_elementwise_kernelIZZZNS0_12_GLOBAL__N_137scaled_modified_bessel_k0_kernel_cudaERNS_18TensorIteratorBaseEENKUlvE_clEvENKUlvE0_clEvEUlfE_St5arrayIPcLm2EELi4E23TrivialOffsetCalculatorILi1EjESC_NS0_6memory15LoadWithoutCastENSD_16StoreWithoutCastEEEviT_T0_T2_T3_T4_T5_,"axG",@progbits,_ZN2at6native27unrolled_elementwise_kernelIZZZNS0_12_GLOBAL__N_137scaled_modified_bessel_k0_kernel_cudaERNS_18TensorIteratorBaseEENKUlvE_clEvENKUlvE0_clEvEUlfE_St5arrayIPcLm2EELi4E23TrivialOffsetCalculatorILi1EjESC_NS0_6memory15LoadWithoutCastENSD_16StoreWithoutCastEEEviT_T0_T2_T3_T4_T5_,comdat
	.globl	_ZN2at6native27unrolled_elementwise_kernelIZZZNS0_12_GLOBAL__N_137scaled_modified_bessel_k0_kernel_cudaERNS_18TensorIteratorBaseEENKUlvE_clEvENKUlvE0_clEvEUlfE_St5arrayIPcLm2EELi4E23TrivialOffsetCalculatorILi1EjESC_NS0_6memory15LoadWithoutCastENSD_16StoreWithoutCastEEEviT_T0_T2_T3_T4_T5_ ; -- Begin function _ZN2at6native27unrolled_elementwise_kernelIZZZNS0_12_GLOBAL__N_137scaled_modified_bessel_k0_kernel_cudaERNS_18TensorIteratorBaseEENKUlvE_clEvENKUlvE0_clEvEUlfE_St5arrayIPcLm2EELi4E23TrivialOffsetCalculatorILi1EjESC_NS0_6memory15LoadWithoutCastENSD_16StoreWithoutCastEEEviT_T0_T2_T3_T4_T5_
	.p2align	8
	.type	_ZN2at6native27unrolled_elementwise_kernelIZZZNS0_12_GLOBAL__N_137scaled_modified_bessel_k0_kernel_cudaERNS_18TensorIteratorBaseEENKUlvE_clEvENKUlvE0_clEvEUlfE_St5arrayIPcLm2EELi4E23TrivialOffsetCalculatorILi1EjESC_NS0_6memory15LoadWithoutCastENSD_16StoreWithoutCastEEEviT_T0_T2_T3_T4_T5_,@function
_ZN2at6native27unrolled_elementwise_kernelIZZZNS0_12_GLOBAL__N_137scaled_modified_bessel_k0_kernel_cudaERNS_18TensorIteratorBaseEENKUlvE_clEvENKUlvE0_clEvEUlfE_St5arrayIPcLm2EELi4E23TrivialOffsetCalculatorILi1EjESC_NS0_6memory15LoadWithoutCastENSD_16StoreWithoutCastEEEviT_T0_T2_T3_T4_T5_: ; @_ZN2at6native27unrolled_elementwise_kernelIZZZNS0_12_GLOBAL__N_137scaled_modified_bessel_k0_kernel_cudaERNS_18TensorIteratorBaseEENKUlvE_clEvENKUlvE0_clEvEUlfE_St5arrayIPcLm2EELi4E23TrivialOffsetCalculatorILi1EjESC_NS0_6memory15LoadWithoutCastENSD_16StoreWithoutCastEEEviT_T0_T2_T3_T4_T5_
; %bb.0:
	s_add_u32 s0, s0, s7
	s_load_dword s7, s[4:5], 0x0
	s_load_dwordx4 s[8:11], s[4:5], 0x8
	s_addc_u32 s1, s1, 0
	s_lshl_b32 s4, s6, 10
	s_mov_b32 s12, s6
	s_waitcnt lgkmcnt(0)
	s_sub_i32 s7, s7, s4
	s_getpc_b64 s[4:5]
	s_add_u32 s4, s4, _ZN2at6native25elementwise_kernel_helperILb0EZZZNS0_12_GLOBAL__N_137scaled_modified_bessel_k0_kernel_cudaERNS_18TensorIteratorBaseEENKUlvE_clEvENKUlvE0_clEvEUlfE_NS0_6memory8policies11unroll_baseILi256ESt5arrayIPcLm2EE23TrivialOffsetCalculatorILi1EjESF_NS8_15LoadWithoutCastENS8_16StoreWithoutCastELi4ELi1EEEEEvT0_T1_@rel32@lo+4
	s_addc_u32 s5, s5, _ZN2at6native25elementwise_kernel_helperILb0EZZZNS0_12_GLOBAL__N_137scaled_modified_bessel_k0_kernel_cudaERNS_18TensorIteratorBaseEENKUlvE_clEvENKUlvE0_clEvEUlfE_NS0_6memory8policies11unroll_baseILi256ESt5arrayIPcLm2EE23TrivialOffsetCalculatorILi1EjESF_NS8_15LoadWithoutCastENS8_16StoreWithoutCastELi4ELi1EEEEEvT0_T1_@rel32@hi+12
	v_mov_b32_e32 v31, v0
	v_mov_b32_e32 v0, s8
	;; [unrolled: 1-line block ×6, first 2 shown]
	s_mov_b32 s32, 0
	s_swappc_b64 s[30:31], s[4:5]
	s_endpgm
	.section	.rodata,"a",@progbits
	.p2align	6, 0x0
	.amdhsa_kernel _ZN2at6native27unrolled_elementwise_kernelIZZZNS0_12_GLOBAL__N_137scaled_modified_bessel_k0_kernel_cudaERNS_18TensorIteratorBaseEENKUlvE_clEvENKUlvE0_clEvEUlfE_St5arrayIPcLm2EELi4E23TrivialOffsetCalculatorILi1EjESC_NS0_6memory15LoadWithoutCastENSD_16StoreWithoutCastEEEviT_T0_T2_T3_T4_T5_
		.amdhsa_group_segment_fixed_size 0
		.amdhsa_private_segment_fixed_size 0
		.amdhsa_kernarg_size 28
		.amdhsa_user_sgpr_count 6
		.amdhsa_user_sgpr_private_segment_buffer 1
		.amdhsa_user_sgpr_dispatch_ptr 0
		.amdhsa_user_sgpr_queue_ptr 0
		.amdhsa_user_sgpr_kernarg_segment_ptr 1
		.amdhsa_user_sgpr_dispatch_id 0
		.amdhsa_user_sgpr_flat_scratch_init 0
		.amdhsa_user_sgpr_private_segment_size 0
		.amdhsa_uses_dynamic_stack 0
		.amdhsa_system_sgpr_private_segment_wavefront_offset 0
		.amdhsa_system_sgpr_workgroup_id_x 1
		.amdhsa_system_sgpr_workgroup_id_y 0
		.amdhsa_system_sgpr_workgroup_id_z 0
		.amdhsa_system_sgpr_workgroup_info 0
		.amdhsa_system_vgpr_workitem_id 0
		.amdhsa_next_free_vgpr 32
		.amdhsa_next_free_sgpr 33
		.amdhsa_reserve_vcc 1
		.amdhsa_reserve_flat_scratch 0
		.amdhsa_float_round_mode_32 0
		.amdhsa_float_round_mode_16_64 0
		.amdhsa_float_denorm_mode_32 3
		.amdhsa_float_denorm_mode_16_64 3
		.amdhsa_dx10_clamp 1
		.amdhsa_ieee_mode 1
		.amdhsa_fp16_overflow 0
		.amdhsa_exception_fp_ieee_invalid_op 0
		.amdhsa_exception_fp_denorm_src 0
		.amdhsa_exception_fp_ieee_div_zero 0
		.amdhsa_exception_fp_ieee_overflow 0
		.amdhsa_exception_fp_ieee_underflow 0
		.amdhsa_exception_fp_ieee_inexact 0
		.amdhsa_exception_int_div_zero 0
	.end_amdhsa_kernel
	.section	.text._ZN2at6native27unrolled_elementwise_kernelIZZZNS0_12_GLOBAL__N_137scaled_modified_bessel_k0_kernel_cudaERNS_18TensorIteratorBaseEENKUlvE_clEvENKUlvE0_clEvEUlfE_St5arrayIPcLm2EELi4E23TrivialOffsetCalculatorILi1EjESC_NS0_6memory15LoadWithoutCastENSD_16StoreWithoutCastEEEviT_T0_T2_T3_T4_T5_,"axG",@progbits,_ZN2at6native27unrolled_elementwise_kernelIZZZNS0_12_GLOBAL__N_137scaled_modified_bessel_k0_kernel_cudaERNS_18TensorIteratorBaseEENKUlvE_clEvENKUlvE0_clEvEUlfE_St5arrayIPcLm2EELi4E23TrivialOffsetCalculatorILi1EjESC_NS0_6memory15LoadWithoutCastENSD_16StoreWithoutCastEEEviT_T0_T2_T3_T4_T5_,comdat
.Lfunc_end16:
	.size	_ZN2at6native27unrolled_elementwise_kernelIZZZNS0_12_GLOBAL__N_137scaled_modified_bessel_k0_kernel_cudaERNS_18TensorIteratorBaseEENKUlvE_clEvENKUlvE0_clEvEUlfE_St5arrayIPcLm2EELi4E23TrivialOffsetCalculatorILi1EjESC_NS0_6memory15LoadWithoutCastENSD_16StoreWithoutCastEEEviT_T0_T2_T3_T4_T5_, .Lfunc_end16-_ZN2at6native27unrolled_elementwise_kernelIZZZNS0_12_GLOBAL__N_137scaled_modified_bessel_k0_kernel_cudaERNS_18TensorIteratorBaseEENKUlvE_clEvENKUlvE0_clEvEUlfE_St5arrayIPcLm2EELi4E23TrivialOffsetCalculatorILi1EjESC_NS0_6memory15LoadWithoutCastENSD_16StoreWithoutCastEEEviT_T0_T2_T3_T4_T5_
                                        ; -- End function
	.set _ZN2at6native27unrolled_elementwise_kernelIZZZNS0_12_GLOBAL__N_137scaled_modified_bessel_k0_kernel_cudaERNS_18TensorIteratorBaseEENKUlvE_clEvENKUlvE0_clEvEUlfE_St5arrayIPcLm2EELi4E23TrivialOffsetCalculatorILi1EjESC_NS0_6memory15LoadWithoutCastENSD_16StoreWithoutCastEEEviT_T0_T2_T3_T4_T5_.num_vgpr, max(32, .L_ZN2at6native25elementwise_kernel_helperILb0EZZZNS0_12_GLOBAL__N_137scaled_modified_bessel_k0_kernel_cudaERNS_18TensorIteratorBaseEENKUlvE_clEvENKUlvE0_clEvEUlfE_NS0_6memory8policies11unroll_baseILi256ESt5arrayIPcLm2EE23TrivialOffsetCalculatorILi1EjESF_NS8_15LoadWithoutCastENS8_16StoreWithoutCastELi4ELi1EEEEEvT0_T1_.num_vgpr)
	.set _ZN2at6native27unrolled_elementwise_kernelIZZZNS0_12_GLOBAL__N_137scaled_modified_bessel_k0_kernel_cudaERNS_18TensorIteratorBaseEENKUlvE_clEvENKUlvE0_clEvEUlfE_St5arrayIPcLm2EELi4E23TrivialOffsetCalculatorILi1EjESC_NS0_6memory15LoadWithoutCastENSD_16StoreWithoutCastEEEviT_T0_T2_T3_T4_T5_.num_agpr, max(0, .L_ZN2at6native25elementwise_kernel_helperILb0EZZZNS0_12_GLOBAL__N_137scaled_modified_bessel_k0_kernel_cudaERNS_18TensorIteratorBaseEENKUlvE_clEvENKUlvE0_clEvEUlfE_NS0_6memory8policies11unroll_baseILi256ESt5arrayIPcLm2EE23TrivialOffsetCalculatorILi1EjESF_NS8_15LoadWithoutCastENS8_16StoreWithoutCastELi4ELi1EEEEEvT0_T1_.num_agpr)
	.set _ZN2at6native27unrolled_elementwise_kernelIZZZNS0_12_GLOBAL__N_137scaled_modified_bessel_k0_kernel_cudaERNS_18TensorIteratorBaseEENKUlvE_clEvENKUlvE0_clEvEUlfE_St5arrayIPcLm2EELi4E23TrivialOffsetCalculatorILi1EjESC_NS0_6memory15LoadWithoutCastENSD_16StoreWithoutCastEEEviT_T0_T2_T3_T4_T5_.numbered_sgpr, max(33, .L_ZN2at6native25elementwise_kernel_helperILb0EZZZNS0_12_GLOBAL__N_137scaled_modified_bessel_k0_kernel_cudaERNS_18TensorIteratorBaseEENKUlvE_clEvENKUlvE0_clEvEUlfE_NS0_6memory8policies11unroll_baseILi256ESt5arrayIPcLm2EE23TrivialOffsetCalculatorILi1EjESF_NS8_15LoadWithoutCastENS8_16StoreWithoutCastELi4ELi1EEEEEvT0_T1_.numbered_sgpr)
	.set _ZN2at6native27unrolled_elementwise_kernelIZZZNS0_12_GLOBAL__N_137scaled_modified_bessel_k0_kernel_cudaERNS_18TensorIteratorBaseEENKUlvE_clEvENKUlvE0_clEvEUlfE_St5arrayIPcLm2EELi4E23TrivialOffsetCalculatorILi1EjESC_NS0_6memory15LoadWithoutCastENSD_16StoreWithoutCastEEEviT_T0_T2_T3_T4_T5_.num_named_barrier, max(0, .L_ZN2at6native25elementwise_kernel_helperILb0EZZZNS0_12_GLOBAL__N_137scaled_modified_bessel_k0_kernel_cudaERNS_18TensorIteratorBaseEENKUlvE_clEvENKUlvE0_clEvEUlfE_NS0_6memory8policies11unroll_baseILi256ESt5arrayIPcLm2EE23TrivialOffsetCalculatorILi1EjESF_NS8_15LoadWithoutCastENS8_16StoreWithoutCastELi4ELi1EEEEEvT0_T1_.num_named_barrier)
	.set _ZN2at6native27unrolled_elementwise_kernelIZZZNS0_12_GLOBAL__N_137scaled_modified_bessel_k0_kernel_cudaERNS_18TensorIteratorBaseEENKUlvE_clEvENKUlvE0_clEvEUlfE_St5arrayIPcLm2EELi4E23TrivialOffsetCalculatorILi1EjESC_NS0_6memory15LoadWithoutCastENSD_16StoreWithoutCastEEEviT_T0_T2_T3_T4_T5_.private_seg_size, 0+max(.L_ZN2at6native25elementwise_kernel_helperILb0EZZZNS0_12_GLOBAL__N_137scaled_modified_bessel_k0_kernel_cudaERNS_18TensorIteratorBaseEENKUlvE_clEvENKUlvE0_clEvEUlfE_NS0_6memory8policies11unroll_baseILi256ESt5arrayIPcLm2EE23TrivialOffsetCalculatorILi1EjESF_NS8_15LoadWithoutCastENS8_16StoreWithoutCastELi4ELi1EEEEEvT0_T1_.private_seg_size)
	.set _ZN2at6native27unrolled_elementwise_kernelIZZZNS0_12_GLOBAL__N_137scaled_modified_bessel_k0_kernel_cudaERNS_18TensorIteratorBaseEENKUlvE_clEvENKUlvE0_clEvEUlfE_St5arrayIPcLm2EELi4E23TrivialOffsetCalculatorILi1EjESC_NS0_6memory15LoadWithoutCastENSD_16StoreWithoutCastEEEviT_T0_T2_T3_T4_T5_.uses_vcc, or(1, .L_ZN2at6native25elementwise_kernel_helperILb0EZZZNS0_12_GLOBAL__N_137scaled_modified_bessel_k0_kernel_cudaERNS_18TensorIteratorBaseEENKUlvE_clEvENKUlvE0_clEvEUlfE_NS0_6memory8policies11unroll_baseILi256ESt5arrayIPcLm2EE23TrivialOffsetCalculatorILi1EjESF_NS8_15LoadWithoutCastENS8_16StoreWithoutCastELi4ELi1EEEEEvT0_T1_.uses_vcc)
	.set _ZN2at6native27unrolled_elementwise_kernelIZZZNS0_12_GLOBAL__N_137scaled_modified_bessel_k0_kernel_cudaERNS_18TensorIteratorBaseEENKUlvE_clEvENKUlvE0_clEvEUlfE_St5arrayIPcLm2EELi4E23TrivialOffsetCalculatorILi1EjESC_NS0_6memory15LoadWithoutCastENSD_16StoreWithoutCastEEEviT_T0_T2_T3_T4_T5_.uses_flat_scratch, or(0, .L_ZN2at6native25elementwise_kernel_helperILb0EZZZNS0_12_GLOBAL__N_137scaled_modified_bessel_k0_kernel_cudaERNS_18TensorIteratorBaseEENKUlvE_clEvENKUlvE0_clEvEUlfE_NS0_6memory8policies11unroll_baseILi256ESt5arrayIPcLm2EE23TrivialOffsetCalculatorILi1EjESF_NS8_15LoadWithoutCastENS8_16StoreWithoutCastELi4ELi1EEEEEvT0_T1_.uses_flat_scratch)
	.set _ZN2at6native27unrolled_elementwise_kernelIZZZNS0_12_GLOBAL__N_137scaled_modified_bessel_k0_kernel_cudaERNS_18TensorIteratorBaseEENKUlvE_clEvENKUlvE0_clEvEUlfE_St5arrayIPcLm2EELi4E23TrivialOffsetCalculatorILi1EjESC_NS0_6memory15LoadWithoutCastENSD_16StoreWithoutCastEEEviT_T0_T2_T3_T4_T5_.has_dyn_sized_stack, or(0, .L_ZN2at6native25elementwise_kernel_helperILb0EZZZNS0_12_GLOBAL__N_137scaled_modified_bessel_k0_kernel_cudaERNS_18TensorIteratorBaseEENKUlvE_clEvENKUlvE0_clEvEUlfE_NS0_6memory8policies11unroll_baseILi256ESt5arrayIPcLm2EE23TrivialOffsetCalculatorILi1EjESF_NS8_15LoadWithoutCastENS8_16StoreWithoutCastELi4ELi1EEEEEvT0_T1_.has_dyn_sized_stack)
	.set _ZN2at6native27unrolled_elementwise_kernelIZZZNS0_12_GLOBAL__N_137scaled_modified_bessel_k0_kernel_cudaERNS_18TensorIteratorBaseEENKUlvE_clEvENKUlvE0_clEvEUlfE_St5arrayIPcLm2EELi4E23TrivialOffsetCalculatorILi1EjESC_NS0_6memory15LoadWithoutCastENSD_16StoreWithoutCastEEEviT_T0_T2_T3_T4_T5_.has_recursion, or(0, .L_ZN2at6native25elementwise_kernel_helperILb0EZZZNS0_12_GLOBAL__N_137scaled_modified_bessel_k0_kernel_cudaERNS_18TensorIteratorBaseEENKUlvE_clEvENKUlvE0_clEvEUlfE_NS0_6memory8policies11unroll_baseILi256ESt5arrayIPcLm2EE23TrivialOffsetCalculatorILi1EjESF_NS8_15LoadWithoutCastENS8_16StoreWithoutCastELi4ELi1EEEEEvT0_T1_.has_recursion)
	.set _ZN2at6native27unrolled_elementwise_kernelIZZZNS0_12_GLOBAL__N_137scaled_modified_bessel_k0_kernel_cudaERNS_18TensorIteratorBaseEENKUlvE_clEvENKUlvE0_clEvEUlfE_St5arrayIPcLm2EELi4E23TrivialOffsetCalculatorILi1EjESC_NS0_6memory15LoadWithoutCastENSD_16StoreWithoutCastEEEviT_T0_T2_T3_T4_T5_.has_indirect_call, or(0, .L_ZN2at6native25elementwise_kernel_helperILb0EZZZNS0_12_GLOBAL__N_137scaled_modified_bessel_k0_kernel_cudaERNS_18TensorIteratorBaseEENKUlvE_clEvENKUlvE0_clEvEUlfE_NS0_6memory8policies11unroll_baseILi256ESt5arrayIPcLm2EE23TrivialOffsetCalculatorILi1EjESF_NS8_15LoadWithoutCastENS8_16StoreWithoutCastELi4ELi1EEEEEvT0_T1_.has_indirect_call)
	.section	.AMDGPU.csdata,"",@progbits
; Kernel info:
; codeLenInByte = 96
; TotalNumSgprs: 37
; NumVgprs: 32
; ScratchSize: 0
; MemoryBound: 0
; FloatMode: 240
; IeeeMode: 1
; LDSByteSize: 0 bytes/workgroup (compile time only)
; SGPRBlocks: 4
; VGPRBlocks: 7
; NumSGPRsForWavesPerEU: 37
; NumVGPRsForWavesPerEU: 32
; Occupancy: 8
; WaveLimiterHint : 0
; COMPUTE_PGM_RSRC2:SCRATCH_EN: 0
; COMPUTE_PGM_RSRC2:USER_SGPR: 6
; COMPUTE_PGM_RSRC2:TRAP_HANDLER: 0
; COMPUTE_PGM_RSRC2:TGID_X_EN: 1
; COMPUTE_PGM_RSRC2:TGID_Y_EN: 0
; COMPUTE_PGM_RSRC2:TGID_Z_EN: 0
; COMPUTE_PGM_RSRC2:TIDIG_COMP_CNT: 0
	.section	.text._ZN2at6native32elementwise_kernel_manual_unrollILi128ELi4EZNS0_22gpu_kernel_impl_nocastIZZZNS0_12_GLOBAL__N_137scaled_modified_bessel_k0_kernel_cudaERNS_18TensorIteratorBaseEENKUlvE_clEvENKUlvE0_clEvEUlfE_EEvS5_RKT_EUlibE_EEviT1_,"axG",@progbits,_ZN2at6native32elementwise_kernel_manual_unrollILi128ELi4EZNS0_22gpu_kernel_impl_nocastIZZZNS0_12_GLOBAL__N_137scaled_modified_bessel_k0_kernel_cudaERNS_18TensorIteratorBaseEENKUlvE_clEvENKUlvE0_clEvEUlfE_EEvS5_RKT_EUlibE_EEviT1_,comdat
	.globl	_ZN2at6native32elementwise_kernel_manual_unrollILi128ELi4EZNS0_22gpu_kernel_impl_nocastIZZZNS0_12_GLOBAL__N_137scaled_modified_bessel_k0_kernel_cudaERNS_18TensorIteratorBaseEENKUlvE_clEvENKUlvE0_clEvEUlfE_EEvS5_RKT_EUlibE_EEviT1_ ; -- Begin function _ZN2at6native32elementwise_kernel_manual_unrollILi128ELi4EZNS0_22gpu_kernel_impl_nocastIZZZNS0_12_GLOBAL__N_137scaled_modified_bessel_k0_kernel_cudaERNS_18TensorIteratorBaseEENKUlvE_clEvENKUlvE0_clEvEUlfE_EEvS5_RKT_EUlibE_EEviT1_
	.p2align	8
	.type	_ZN2at6native32elementwise_kernel_manual_unrollILi128ELi4EZNS0_22gpu_kernel_impl_nocastIZZZNS0_12_GLOBAL__N_137scaled_modified_bessel_k0_kernel_cudaERNS_18TensorIteratorBaseEENKUlvE_clEvENKUlvE0_clEvEUlfE_EEvS5_RKT_EUlibE_EEviT1_,@function
_ZN2at6native32elementwise_kernel_manual_unrollILi128ELi4EZNS0_22gpu_kernel_impl_nocastIZZZNS0_12_GLOBAL__N_137scaled_modified_bessel_k0_kernel_cudaERNS_18TensorIteratorBaseEENKUlvE_clEvENKUlvE0_clEvEUlfE_EEvS5_RKT_EUlibE_EEviT1_: ; @_ZN2at6native32elementwise_kernel_manual_unrollILi128ELi4EZNS0_22gpu_kernel_impl_nocastIZZZNS0_12_GLOBAL__N_137scaled_modified_bessel_k0_kernel_cudaERNS_18TensorIteratorBaseEENKUlvE_clEvENKUlvE0_clEvEUlfE_EEvS5_RKT_EUlibE_EEviT1_
; %bb.0:
	s_load_dword s55, s[4:5], 0x0
	s_load_dword s33, s[4:5], 0x8
	s_add_u32 s34, s4, 8
	s_addc_u32 s35, s5, 0
	v_lshl_or_b32 v4, s6, 9, v0
	v_or_b32_e32 v13, 0x180, v4
	s_waitcnt lgkmcnt(0)
	s_add_i32 s54, s33, -1
	s_cmp_gt_u32 s54, 1
	v_cmp_le_i32_e32 vcc, s55, v13
	s_cselect_b64 s[36:37], -1, 0
	s_and_saveexec_b64 s[0:1], vcc
	s_xor_b64 s[38:39], exec, s[0:1]
	s_cbranch_execz .LBB17_7
; %bb.1:
	s_load_dwordx4 s[24:27], s[34:35], 0x4
	s_load_dwordx2 s[40:41], s[34:35], 0x14
	s_load_dwordx4 s[20:23], s[34:35], 0xc4
	s_load_dwordx4 s[16:19], s[34:35], 0x148
	s_cmp_lg_u32 s33, 0
	s_cselect_b64 s[46:47], -1, 0
	s_add_u32 s44, s34, 0xc4
	s_addc_u32 s45, s35, 0
	s_min_u32 s56, s54, 15
	s_cmp_gt_u32 s33, 1
	s_cselect_b64 s[42:43], -1, 0
	v_cmp_gt_i32_e32 vcc, s55, v4
	s_and_saveexec_b64 s[48:49], vcc
	s_cbranch_execz .LBB17_14
; %bb.2:
	s_andn2_b64 vcc, exec, s[36:37]
	s_cbranch_vccnz .LBB17_21
; %bb.3:
	s_andn2_b64 vcc, exec, s[46:47]
	s_cbranch_vccnz .LBB17_105
; %bb.4:
	s_add_i32 s58, s56, 1
	s_cmp_eq_u32 s54, 2
	s_cbranch_scc1 .LBB17_107
; %bb.5:
	s_and_b32 s57, s58, 28
	v_mov_b32_e32 v2, 0
	s_mov_b32 s59, 0
	s_mov_b64 s[50:51], s[34:35]
	s_mov_b64 s[52:53], s[44:45]
	v_mov_b32_e32 v0, 0
	v_mov_b32_e32 v1, v4
.LBB17_6:                               ; =>This Inner Loop Header: Depth=1
	s_load_dwordx8 s[8:15], s[50:51], 0x4
	s_load_dwordx4 s[28:31], s[50:51], 0x24
	s_load_dwordx8 s[0:7], s[52:53], 0x0
	s_add_u32 s50, s50, 48
	s_addc_u32 s51, s51, 0
	s_waitcnt lgkmcnt(0)
	v_mul_hi_u32 v3, s9, v1
	s_add_i32 s59, s59, 4
	s_add_u32 s52, s52, 32
	s_addc_u32 s53, s53, 0
	v_add_u32_e32 v3, v1, v3
	v_lshrrev_b32_e32 v3, s10, v3
	v_mul_lo_u32 v5, v3, s8
	v_mul_hi_u32 v6, s12, v3
	s_cmp_lg_u32 s57, s59
	v_sub_u32_e32 v1, v1, v5
	v_add_u32_e32 v5, v3, v6
	v_mul_lo_u32 v6, v1, s0
	v_mul_lo_u32 v7, v1, s1
	v_lshrrev_b32_e32 v1, s13, v5
	v_mul_lo_u32 v5, v1, s11
	v_mul_hi_u32 v8, s15, v1
	v_sub_u32_e32 v3, v3, v5
	v_add_u32_e32 v5, v1, v8
	v_lshrrev_b32_e32 v5, s28, v5
	v_mul_hi_u32 v9, s30, v5
	v_mul_lo_u32 v10, v5, s14
	v_mul_lo_u32 v8, v3, s2
	;; [unrolled: 1-line block ×3, first 2 shown]
	v_sub_u32_e32 v10, v1, v10
	v_add_u32_e32 v1, v5, v9
	v_lshrrev_b32_e32 v1, s31, v1
	v_mul_lo_u32 v9, v1, s29
	v_mul_lo_u32 v11, v10, s4
	;; [unrolled: 1-line block ×3, first 2 shown]
	v_add3_u32 v0, v6, v0, v8
	v_sub_u32_e32 v5, v5, v9
	v_mul_lo_u32 v9, v5, s6
	v_mul_lo_u32 v5, v5, s7
	v_add3_u32 v2, v7, v2, v3
	v_add3_u32 v0, v11, v0, v9
	v_add3_u32 v2, v10, v2, v5
	s_cbranch_scc1 .LBB17_6
	s_branch .LBB17_108
.LBB17_7:
	s_andn2_saveexec_b64 s[0:1], s[38:39]
	s_cbranch_execz .LBB17_149
.LBB17_8:
	v_cndmask_b32_e64 v0, 0, 1, s[36:37]
	v_cmp_ne_u32_e64 s[0:1], 1, v0
	s_andn2_b64 vcc, exec, s[36:37]
	s_cbranch_vccnz .LBB17_20
; %bb.9:
	s_cmp_lg_u32 s33, 0
	s_waitcnt lgkmcnt(0)
	s_mov_b32 s26, 0
	s_cbranch_scc0 .LBB17_23
; %bb.10:
	s_min_u32 s27, s54, 15
	s_add_i32 s27, s27, 1
	s_cmp_eq_u32 s54, 2
	s_cbranch_scc1 .LBB17_24
; %bb.11:
	s_and_b32 s26, s27, 28
	s_add_u32 s2, s34, 0xc4
	s_addc_u32 s3, s35, 0
	v_mov_b32_e32 v11, 0
	s_mov_b32 s28, 0
	s_mov_b64 s[24:25], s[34:35]
	v_mov_b32_e32 v0, 0
	v_mov_b32_e32 v1, v4
.LBB17_12:                              ; =>This Inner Loop Header: Depth=1
	s_load_dwordx8 s[12:19], s[24:25], 0x4
	s_load_dwordx4 s[20:23], s[24:25], 0x24
	s_load_dwordx8 s[4:11], s[2:3], 0x0
	s_add_u32 s24, s24, 48
	s_addc_u32 s25, s25, 0
	s_waitcnt lgkmcnt(0)
	v_mul_hi_u32 v2, s13, v1
	s_add_i32 s28, s28, 4
	s_add_u32 s2, s2, 32
	s_addc_u32 s3, s3, 0
	v_add_u32_e32 v2, v1, v2
	v_lshrrev_b32_e32 v2, s14, v2
	v_mul_lo_u32 v3, v2, s12
	v_mul_hi_u32 v5, s16, v2
	s_cmp_lg_u32 s26, s28
	v_sub_u32_e32 v1, v1, v3
	v_add_u32_e32 v3, v2, v5
	v_mul_lo_u32 v5, v1, s4
	v_mul_lo_u32 v6, v1, s5
	v_lshrrev_b32_e32 v1, s17, v3
	v_mul_lo_u32 v3, v1, s15
	v_mul_hi_u32 v7, s19, v1
	v_sub_u32_e32 v2, v2, v3
	v_add_u32_e32 v3, v1, v7
	v_lshrrev_b32_e32 v3, s20, v3
	v_mul_hi_u32 v8, s22, v3
	v_mul_lo_u32 v9, v3, s18
	v_mul_lo_u32 v7, v2, s6
	;; [unrolled: 1-line block ×3, first 2 shown]
	v_sub_u32_e32 v9, v1, v9
	v_add_u32_e32 v1, v3, v8
	v_lshrrev_b32_e32 v1, s23, v1
	v_mul_lo_u32 v8, v1, s21
	v_mul_lo_u32 v10, v9, s8
	;; [unrolled: 1-line block ×3, first 2 shown]
	v_add3_u32 v0, v5, v0, v7
	v_sub_u32_e32 v3, v3, v8
	v_mul_lo_u32 v8, v3, s10
	v_mul_lo_u32 v3, v3, s11
	v_add3_u32 v2, v6, v11, v2
	v_add3_u32 v0, v10, v0, v8
	;; [unrolled: 1-line block ×3, first 2 shown]
	s_cbranch_scc1 .LBB17_12
; %bb.13:
	s_and_b32 s6, s27, 3
	s_cmp_eq_u32 s6, 0
	s_cbranch_scc0 .LBB17_25
	s_branch .LBB17_27
.LBB17_14:
	s_or_b64 exec, exec, s[48:49]
	v_cmp_gt_i32_e32 vcc, s55, v4
	s_and_saveexec_b64 s[48:49], vcc
	s_cbranch_execz .LBB17_123
.LBB17_15:
	s_andn2_b64 vcc, exec, s[36:37]
	s_cbranch_vccnz .LBB17_22
; %bb.16:
	s_andn2_b64 vcc, exec, s[46:47]
	s_cbranch_vccnz .LBB17_106
; %bb.17:
	s_add_i32 s58, s56, 1
	s_cmp_eq_u32 s54, 2
	s_cbranch_scc1 .LBB17_131
; %bb.18:
	s_and_b32 s57, s58, 28
	v_mov_b32_e32 v2, 0
	s_mov_b32 s59, 0
	s_mov_b64 s[50:51], s[34:35]
	s_mov_b64 s[52:53], s[44:45]
	v_mov_b32_e32 v0, 0
	v_mov_b32_e32 v1, v4
.LBB17_19:                              ; =>This Inner Loop Header: Depth=1
	s_load_dwordx8 s[8:15], s[50:51], 0x4
	s_load_dwordx4 s[28:31], s[50:51], 0x24
	s_load_dwordx8 s[0:7], s[52:53], 0x0
	s_add_u32 s50, s50, 48
	s_addc_u32 s51, s51, 0
	s_waitcnt lgkmcnt(0)
	v_mul_hi_u32 v3, s9, v1
	s_add_i32 s59, s59, 4
	s_add_u32 s52, s52, 32
	s_addc_u32 s53, s53, 0
	v_add_u32_e32 v3, v1, v3
	v_lshrrev_b32_e32 v3, s10, v3
	v_mul_lo_u32 v5, v3, s8
	v_mul_hi_u32 v6, s12, v3
	s_cmp_eq_u32 s57, s59
	v_sub_u32_e32 v1, v1, v5
	v_add_u32_e32 v5, v3, v6
	v_mul_lo_u32 v6, v1, s0
	v_mul_lo_u32 v7, v1, s1
	v_lshrrev_b32_e32 v1, s13, v5
	v_mul_lo_u32 v5, v1, s11
	v_mul_hi_u32 v8, s15, v1
	v_sub_u32_e32 v3, v3, v5
	v_add_u32_e32 v5, v1, v8
	v_lshrrev_b32_e32 v5, s28, v5
	v_mul_hi_u32 v9, s30, v5
	v_mul_lo_u32 v10, v5, s14
	v_mul_lo_u32 v8, v3, s2
	;; [unrolled: 1-line block ×3, first 2 shown]
	v_sub_u32_e32 v10, v1, v10
	v_add_u32_e32 v1, v5, v9
	v_lshrrev_b32_e32 v1, s31, v1
	v_mul_lo_u32 v9, v1, s29
	v_mul_lo_u32 v11, v10, s4
	;; [unrolled: 1-line block ×3, first 2 shown]
	v_add3_u32 v0, v6, v0, v8
	v_sub_u32_e32 v5, v5, v9
	v_mul_lo_u32 v9, v5, s6
	v_mul_lo_u32 v5, v5, s7
	v_add3_u32 v2, v7, v2, v3
	v_add3_u32 v0, v11, v0, v9
	;; [unrolled: 1-line block ×3, first 2 shown]
	s_cbranch_scc0 .LBB17_19
	s_branch .LBB17_132
.LBB17_20:
                                        ; implicit-def: $vgpr0
                                        ; implicit-def: $vgpr11
	s_branch .LBB17_28
.LBB17_21:
                                        ; implicit-def: $vgpr0
                                        ; implicit-def: $vgpr2
	s_branch .LBB17_112
.LBB17_22:
                                        ; implicit-def: $vgpr0
                                        ; implicit-def: $vgpr2
	s_branch .LBB17_136
.LBB17_23:
	v_mov_b32_e32 v0, 0
	v_mov_b32_e32 v11, 0
	s_branch .LBB17_27
.LBB17_24:
	v_mov_b32_e32 v0, 0
	v_mov_b32_e32 v11, 0
	;; [unrolled: 1-line block ×3, first 2 shown]
	s_and_b32 s6, s27, 3
	s_cmp_eq_u32 s6, 0
	s_cbranch_scc1 .LBB17_27
.LBB17_25:
	s_lshl_b32 s2, s26, 3
	s_add_u32 s2, s34, s2
	s_addc_u32 s3, s35, 0
	s_add_u32 s2, s2, 0xc4
	s_addc_u32 s3, s3, 0
	s_mul_i32 s4, s26, 12
	s_add_u32 s4, s34, s4
	s_addc_u32 s5, s35, 0
.LBB17_26:                              ; =>This Inner Loop Header: Depth=1
	s_load_dwordx2 s[8:9], s[4:5], 0x4
	s_load_dword s7, s[4:5], 0xc
	s_load_dwordx2 s[10:11], s[2:3], 0x0
	s_add_u32 s4, s4, 12
	s_addc_u32 s5, s5, 0
	s_waitcnt lgkmcnt(0)
	v_mul_hi_u32 v2, s9, v1
	s_add_u32 s2, s2, 8
	s_addc_u32 s3, s3, 0
	s_add_i32 s6, s6, -1
	v_add_u32_e32 v2, v1, v2
	v_lshrrev_b32_e32 v2, s7, v2
	v_mul_lo_u32 v3, v2, s8
	s_cmp_lg_u32 s6, 0
	v_sub_u32_e32 v3, v1, v3
	v_mad_u64_u32 v[0:1], s[8:9], v3, s10, v[0:1]
	v_mad_u64_u32 v[11:12], s[8:9], v3, s11, v[11:12]
	v_mov_b32_e32 v1, v2
	s_cbranch_scc1 .LBB17_26
.LBB17_27:
	s_cbranch_execnz .LBB17_30
.LBB17_28:
	s_load_dwordx4 s[4:7], s[34:35], 0x4
	s_load_dwordx2 s[2:3], s[34:35], 0xc4
	s_cmp_lt_u32 s33, 2
	s_waitcnt lgkmcnt(0)
	v_mul_hi_u32 v0, s5, v4
	v_add_u32_e32 v0, v4, v0
	v_lshrrev_b32_e32 v1, s6, v0
	v_mul_lo_u32 v0, v1, s4
	v_sub_u32_e32 v2, v4, v0
	v_mul_lo_u32 v0, v2, s2
	v_mul_lo_u32 v11, v2, s3
	s_cbranch_scc1 .LBB17_30
; %bb.29:
	s_load_dwordx4 s[4:7], s[34:35], 0x10
	s_load_dwordx2 s[2:3], s[34:35], 0xcc
	s_waitcnt lgkmcnt(0)
	v_mul_hi_u32 v2, s5, v1
	v_add_u32_e32 v2, v1, v2
	v_lshrrev_b32_e32 v2, s6, v2
	v_mul_lo_u32 v2, v2, s4
	v_sub_u32_e32 v2, v1, v2
	v_mad_u64_u32 v[0:1], s[4:5], v2, s2, v[0:1]
	v_mad_u64_u32 v[11:12], s[2:3], v2, s3, v[11:12]
.LBB17_30:
	s_and_b64 vcc, exec, s[0:1]
	v_add_u32_e32 v3, 0x80, v4
	s_cbranch_vccnz .LBB17_36
; %bb.31:
	s_cmp_lg_u32 s33, 0
	s_waitcnt lgkmcnt(0)
	s_mov_b32 s26, 0
	s_cbranch_scc0 .LBB17_37
; %bb.32:
	s_min_u32 s27, s54, 15
	s_add_i32 s27, s27, 1
	s_cmp_eq_u32 s54, 2
	s_cbranch_scc1 .LBB17_38
; %bb.33:
	s_and_b32 s26, s27, 28
	s_add_u32 s2, s34, 0xc4
	s_addc_u32 s3, s35, 0
	v_mov_b32_e32 v9, 0
	s_mov_b32 s28, 0
	s_mov_b64 s[24:25], s[34:35]
	v_mov_b32_e32 v1, 0
	v_mov_b32_e32 v2, v3
.LBB17_34:                              ; =>This Inner Loop Header: Depth=1
	s_load_dwordx8 s[12:19], s[24:25], 0x4
	s_load_dwordx4 s[20:23], s[24:25], 0x24
	s_load_dwordx8 s[4:11], s[2:3], 0x0
	s_add_u32 s24, s24, 48
	s_addc_u32 s25, s25, 0
	s_waitcnt lgkmcnt(0)
	v_mul_hi_u32 v5, s13, v2
	s_add_i32 s28, s28, 4
	s_add_u32 s2, s2, 32
	s_addc_u32 s3, s3, 0
	v_add_u32_e32 v5, v2, v5
	v_lshrrev_b32_e32 v5, s14, v5
	v_mul_lo_u32 v6, v5, s12
	v_mul_hi_u32 v7, s16, v5
	s_cmp_lg_u32 s26, s28
	v_sub_u32_e32 v2, v2, v6
	v_add_u32_e32 v6, v5, v7
	v_mul_lo_u32 v7, v2, s4
	v_mul_lo_u32 v8, v2, s5
	v_lshrrev_b32_e32 v2, s17, v6
	v_mul_lo_u32 v6, v2, s15
	v_mul_hi_u32 v10, s19, v2
	v_sub_u32_e32 v5, v5, v6
	v_add_u32_e32 v6, v2, v10
	v_lshrrev_b32_e32 v6, s20, v6
	v_mul_hi_u32 v12, s22, v6
	v_mul_lo_u32 v14, v6, s18
	v_mul_lo_u32 v10, v5, s6
	;; [unrolled: 1-line block ×3, first 2 shown]
	v_sub_u32_e32 v14, v2, v14
	v_add_u32_e32 v2, v6, v12
	v_lshrrev_b32_e32 v2, s23, v2
	v_mul_lo_u32 v12, v2, s21
	v_mul_lo_u32 v15, v14, s8
	;; [unrolled: 1-line block ×3, first 2 shown]
	v_add3_u32 v1, v7, v1, v10
	v_sub_u32_e32 v6, v6, v12
	v_mul_lo_u32 v12, v6, s10
	v_mul_lo_u32 v6, v6, s11
	v_add3_u32 v5, v8, v9, v5
	v_add3_u32 v1, v15, v1, v12
	;; [unrolled: 1-line block ×3, first 2 shown]
	s_cbranch_scc1 .LBB17_34
; %bb.35:
	s_and_b32 s6, s27, 3
	s_cmp_eq_u32 s6, 0
	s_cbranch_scc0 .LBB17_39
	s_branch .LBB17_41
.LBB17_36:
                                        ; implicit-def: $vgpr1
                                        ; implicit-def: $vgpr9
	s_branch .LBB17_42
.LBB17_37:
	v_mov_b32_e32 v1, 0
	v_mov_b32_e32 v9, 0
	s_branch .LBB17_41
.LBB17_38:
	v_mov_b32_e32 v1, 0
	v_mov_b32_e32 v9, 0
	;; [unrolled: 1-line block ×3, first 2 shown]
	s_and_b32 s6, s27, 3
	s_cmp_eq_u32 s6, 0
	s_cbranch_scc1 .LBB17_41
.LBB17_39:
	s_lshl_b32 s2, s26, 3
	s_add_u32 s2, s34, s2
	s_addc_u32 s3, s35, 0
	s_add_u32 s2, s2, 0xc4
	s_addc_u32 s3, s3, 0
	s_mul_i32 s4, s26, 12
	s_add_u32 s4, s34, s4
	s_addc_u32 s5, s35, 0
.LBB17_40:                              ; =>This Inner Loop Header: Depth=1
	s_load_dwordx2 s[8:9], s[4:5], 0x4
	s_load_dword s7, s[4:5], 0xc
	s_load_dwordx2 s[10:11], s[2:3], 0x0
	s_add_u32 s4, s4, 12
	s_addc_u32 s5, s5, 0
	s_waitcnt lgkmcnt(0)
	v_mul_hi_u32 v5, s9, v2
	s_add_u32 s2, s2, 8
	s_addc_u32 s3, s3, 0
	s_add_i32 s6, s6, -1
	v_add_u32_e32 v5, v2, v5
	v_lshrrev_b32_e32 v5, s7, v5
	v_mul_lo_u32 v6, v5, s8
	s_cmp_lg_u32 s6, 0
	v_sub_u32_e32 v6, v2, v6
	v_mad_u64_u32 v[1:2], s[8:9], v6, s10, v[1:2]
	v_mad_u64_u32 v[9:10], s[8:9], v6, s11, v[9:10]
	v_mov_b32_e32 v2, v5
	s_cbranch_scc1 .LBB17_40
.LBB17_41:
	s_cbranch_execnz .LBB17_44
.LBB17_42:
	s_load_dwordx4 s[4:7], s[34:35], 0x4
	s_load_dwordx2 s[2:3], s[34:35], 0xc4
	s_cmp_lt_u32 s33, 2
	s_waitcnt lgkmcnt(0)
	v_mul_hi_u32 v1, s5, v3
	v_add_u32_e32 v1, v3, v1
	v_lshrrev_b32_e32 v2, s6, v1
	v_mul_lo_u32 v1, v2, s4
	v_sub_u32_e32 v3, v3, v1
	v_mul_lo_u32 v1, v3, s2
	v_mul_lo_u32 v9, v3, s3
	s_cbranch_scc1 .LBB17_44
; %bb.43:
	s_load_dwordx4 s[4:7], s[34:35], 0x10
	s_load_dwordx2 s[2:3], s[34:35], 0xcc
	s_waitcnt lgkmcnt(0)
	v_mul_hi_u32 v3, s5, v2
	v_add_u32_e32 v3, v2, v3
	v_lshrrev_b32_e32 v3, s6, v3
	v_mul_lo_u32 v3, v3, s4
	v_sub_u32_e32 v3, v2, v3
	v_mad_u64_u32 v[1:2], s[4:5], v3, s2, v[1:2]
	v_mad_u64_u32 v[9:10], s[2:3], v3, s3, v[9:10]
.LBB17_44:
	s_and_b64 vcc, exec, s[0:1]
	v_add_u32_e32 v4, 0x100, v4
	s_cbranch_vccnz .LBB17_50
; %bb.45:
	s_cmp_lg_u32 s33, 0
	s_waitcnt lgkmcnt(0)
	s_mov_b32 s26, 0
	s_cbranch_scc0 .LBB17_51
; %bb.46:
	s_min_u32 s27, s54, 15
	s_add_i32 s27, s27, 1
	s_cmp_eq_u32 s54, 2
	s_cbranch_scc1 .LBB17_52
; %bb.47:
	s_and_b32 s26, s27, 28
	s_add_u32 s2, s34, 0xc4
	s_addc_u32 s3, s35, 0
	v_mov_b32_e32 v7, 0
	s_mov_b32 s28, 0
	s_mov_b64 s[24:25], s[34:35]
	v_mov_b32_e32 v2, 0
	v_mov_b32_e32 v3, v4
.LBB17_48:                              ; =>This Inner Loop Header: Depth=1
	s_load_dwordx8 s[12:19], s[24:25], 0x4
	s_load_dwordx4 s[20:23], s[24:25], 0x24
	s_load_dwordx8 s[4:11], s[2:3], 0x0
	s_add_u32 s24, s24, 48
	s_addc_u32 s25, s25, 0
	s_waitcnt lgkmcnt(0)
	v_mul_hi_u32 v5, s13, v3
	s_add_i32 s28, s28, 4
	s_add_u32 s2, s2, 32
	s_addc_u32 s3, s3, 0
	v_add_u32_e32 v5, v3, v5
	v_lshrrev_b32_e32 v5, s14, v5
	v_mul_lo_u32 v6, v5, s12
	v_mul_hi_u32 v8, s16, v5
	s_cmp_lg_u32 s26, s28
	v_sub_u32_e32 v3, v3, v6
	v_add_u32_e32 v6, v5, v8
	v_mul_lo_u32 v8, v3, s4
	v_mul_lo_u32 v10, v3, s5
	v_lshrrev_b32_e32 v3, s17, v6
	v_mul_lo_u32 v6, v3, s15
	v_mul_hi_u32 v12, s19, v3
	v_sub_u32_e32 v5, v5, v6
	v_add_u32_e32 v6, v3, v12
	v_lshrrev_b32_e32 v6, s20, v6
	v_mul_hi_u32 v14, s22, v6
	v_mul_lo_u32 v15, v6, s18
	v_mul_lo_u32 v12, v5, s6
	;; [unrolled: 1-line block ×3, first 2 shown]
	v_sub_u32_e32 v15, v3, v15
	v_add_u32_e32 v3, v6, v14
	v_lshrrev_b32_e32 v3, s23, v3
	v_mul_lo_u32 v14, v3, s21
	v_mul_lo_u32 v16, v15, s8
	;; [unrolled: 1-line block ×3, first 2 shown]
	v_add3_u32 v2, v8, v2, v12
	v_sub_u32_e32 v6, v6, v14
	v_mul_lo_u32 v14, v6, s10
	v_mul_lo_u32 v6, v6, s11
	v_add3_u32 v5, v10, v7, v5
	v_add3_u32 v2, v16, v2, v14
	;; [unrolled: 1-line block ×3, first 2 shown]
	s_cbranch_scc1 .LBB17_48
; %bb.49:
	s_and_b32 s6, s27, 3
	s_cmp_eq_u32 s6, 0
	s_cbranch_scc0 .LBB17_53
	s_branch .LBB17_55
.LBB17_50:
                                        ; implicit-def: $vgpr2
                                        ; implicit-def: $vgpr7
	s_branch .LBB17_56
.LBB17_51:
	v_mov_b32_e32 v2, 0
	v_mov_b32_e32 v7, 0
	s_branch .LBB17_55
.LBB17_52:
	v_mov_b32_e32 v2, 0
	v_mov_b32_e32 v7, 0
	;; [unrolled: 1-line block ×3, first 2 shown]
	s_and_b32 s6, s27, 3
	s_cmp_eq_u32 s6, 0
	s_cbranch_scc1 .LBB17_55
.LBB17_53:
	s_lshl_b32 s2, s26, 3
	s_add_u32 s2, s34, s2
	s_addc_u32 s3, s35, 0
	s_add_u32 s2, s2, 0xc4
	s_addc_u32 s3, s3, 0
	s_mul_i32 s4, s26, 12
	s_add_u32 s4, s34, s4
	s_addc_u32 s5, s35, 0
.LBB17_54:                              ; =>This Inner Loop Header: Depth=1
	s_load_dwordx2 s[8:9], s[4:5], 0x4
	s_load_dword s7, s[4:5], 0xc
	s_load_dwordx2 s[10:11], s[2:3], 0x0
	s_add_u32 s4, s4, 12
	s_addc_u32 s5, s5, 0
	s_waitcnt lgkmcnt(0)
	v_mul_hi_u32 v5, s9, v3
	s_add_u32 s2, s2, 8
	s_addc_u32 s3, s3, 0
	s_add_i32 s6, s6, -1
	v_add_u32_e32 v5, v3, v5
	v_lshrrev_b32_e32 v5, s7, v5
	v_mul_lo_u32 v6, v5, s8
	s_cmp_lg_u32 s6, 0
	v_sub_u32_e32 v6, v3, v6
	v_mad_u64_u32 v[2:3], s[8:9], v6, s10, v[2:3]
	v_mad_u64_u32 v[7:8], s[8:9], v6, s11, v[7:8]
	v_mov_b32_e32 v3, v5
	s_cbranch_scc1 .LBB17_54
.LBB17_55:
	s_cbranch_execnz .LBB17_58
.LBB17_56:
	s_load_dwordx4 s[4:7], s[34:35], 0x4
	s_load_dwordx2 s[2:3], s[34:35], 0xc4
	s_cmp_lt_u32 s33, 2
	s_waitcnt lgkmcnt(0)
	v_mul_hi_u32 v2, s5, v4
	v_add_u32_e32 v2, v4, v2
	v_lshrrev_b32_e32 v3, s6, v2
	v_mul_lo_u32 v2, v3, s4
	v_sub_u32_e32 v4, v4, v2
	v_mul_lo_u32 v2, v4, s2
	v_mul_lo_u32 v7, v4, s3
	s_cbranch_scc1 .LBB17_58
; %bb.57:
	s_load_dwordx4 s[4:7], s[34:35], 0x10
	s_load_dwordx2 s[2:3], s[34:35], 0xcc
	s_waitcnt lgkmcnt(0)
	v_mul_hi_u32 v4, s5, v3
	v_add_u32_e32 v4, v3, v4
	v_lshrrev_b32_e32 v4, s6, v4
	v_mul_lo_u32 v4, v4, s4
	v_sub_u32_e32 v4, v3, v4
	v_mad_u64_u32 v[2:3], s[4:5], v4, s2, v[2:3]
	v_mad_u64_u32 v[7:8], s[2:3], v4, s3, v[7:8]
.LBB17_58:
	s_and_b64 vcc, exec, s[0:1]
	s_cbranch_vccnz .LBB17_64
; %bb.59:
	s_cmp_lg_u32 s33, 0
	s_waitcnt lgkmcnt(0)
	s_mov_b32 s24, 0
	s_cbranch_scc0 .LBB17_65
; %bb.60:
	s_min_u32 s25, s54, 15
	s_add_i32 s25, s25, 1
	s_cmp_eq_u32 s54, 2
	s_cbranch_scc1 .LBB17_66
; %bb.61:
	s_and_b32 s24, s25, 28
	s_add_u32 s20, s34, 0xc4
	s_addc_u32 s21, s35, 0
	v_mov_b32_e32 v5, 0
	s_mov_b32 s26, 0
	s_mov_b64 s[22:23], s[34:35]
	v_mov_b32_e32 v3, 0
	v_mov_b32_e32 v4, v13
.LBB17_62:                              ; =>This Inner Loop Header: Depth=1
	s_load_dwordx8 s[8:15], s[22:23], 0x4
	s_load_dwordx4 s[16:19], s[22:23], 0x24
	s_load_dwordx8 s[0:7], s[20:21], 0x0
	s_add_u32 s22, s22, 48
	s_addc_u32 s23, s23, 0
	s_waitcnt lgkmcnt(0)
	v_mul_hi_u32 v6, s9, v4
	s_add_i32 s26, s26, 4
	s_add_u32 s20, s20, 32
	s_addc_u32 s21, s21, 0
	v_add_u32_e32 v6, v4, v6
	v_lshrrev_b32_e32 v6, s10, v6
	v_mul_lo_u32 v8, v6, s8
	v_mul_hi_u32 v10, s12, v6
	s_cmp_lg_u32 s24, s26
	v_sub_u32_e32 v4, v4, v8
	v_add_u32_e32 v8, v6, v10
	v_mul_lo_u32 v10, v4, s0
	v_mul_lo_u32 v12, v4, s1
	v_lshrrev_b32_e32 v4, s13, v8
	v_mul_lo_u32 v8, v4, s11
	v_mul_hi_u32 v14, s15, v4
	v_sub_u32_e32 v6, v6, v8
	v_add_u32_e32 v8, v4, v14
	v_lshrrev_b32_e32 v8, s16, v8
	v_mul_hi_u32 v15, s18, v8
	v_mul_lo_u32 v16, v8, s14
	v_mul_lo_u32 v14, v6, s2
	;; [unrolled: 1-line block ×3, first 2 shown]
	v_sub_u32_e32 v16, v4, v16
	v_add_u32_e32 v4, v8, v15
	v_lshrrev_b32_e32 v4, s19, v4
	v_mul_lo_u32 v15, v4, s17
	v_mul_lo_u32 v17, v16, s4
	;; [unrolled: 1-line block ×3, first 2 shown]
	v_add3_u32 v3, v10, v3, v14
	v_sub_u32_e32 v8, v8, v15
	v_mul_lo_u32 v15, v8, s6
	v_mul_lo_u32 v8, v8, s7
	v_add3_u32 v5, v12, v5, v6
	v_add3_u32 v3, v17, v3, v15
	;; [unrolled: 1-line block ×3, first 2 shown]
	s_cbranch_scc1 .LBB17_62
; %bb.63:
	s_and_b32 s4, s25, 3
	s_cmp_eq_u32 s4, 0
	s_cbranch_scc0 .LBB17_67
	s_branch .LBB17_69
.LBB17_64:
                                        ; implicit-def: $vgpr3
                                        ; implicit-def: $vgpr5
	s_branch .LBB17_70
.LBB17_65:
	v_mov_b32_e32 v3, 0
	v_mov_b32_e32 v5, 0
	s_branch .LBB17_69
.LBB17_66:
	v_mov_b32_e32 v3, 0
	v_mov_b32_e32 v5, 0
	;; [unrolled: 1-line block ×3, first 2 shown]
	s_and_b32 s4, s25, 3
	s_cmp_eq_u32 s4, 0
	s_cbranch_scc1 .LBB17_69
.LBB17_67:
	s_lshl_b32 s0, s24, 3
	s_add_u32 s0, s34, s0
	s_addc_u32 s1, s35, 0
	s_add_u32 s0, s0, 0xc4
	s_addc_u32 s1, s1, 0
	s_mul_i32 s2, s24, 12
	s_add_u32 s2, s34, s2
	s_addc_u32 s3, s35, 0
.LBB17_68:                              ; =>This Inner Loop Header: Depth=1
	s_load_dwordx2 s[6:7], s[2:3], 0x4
	s_load_dword s5, s[2:3], 0xc
	s_load_dwordx2 s[8:9], s[0:1], 0x0
	s_add_u32 s2, s2, 12
	s_addc_u32 s3, s3, 0
	s_waitcnt lgkmcnt(0)
	v_mul_hi_u32 v6, s7, v4
	s_add_u32 s0, s0, 8
	s_addc_u32 s1, s1, 0
	s_add_i32 s4, s4, -1
	v_add_u32_e32 v6, v4, v6
	v_lshrrev_b32_e32 v8, s5, v6
	v_mul_lo_u32 v6, v8, s6
	s_cmp_lg_u32 s4, 0
	v_sub_u32_e32 v6, v4, v6
	v_mad_u64_u32 v[3:4], s[6:7], v6, s8, v[3:4]
	v_mad_u64_u32 v[5:6], s[6:7], v6, s9, v[5:6]
	v_mov_b32_e32 v4, v8
	s_cbranch_scc1 .LBB17_68
.LBB17_69:
	s_cbranch_execnz .LBB17_72
.LBB17_70:
	s_load_dwordx4 s[0:3], s[34:35], 0x4
	s_load_dwordx2 s[4:5], s[34:35], 0xc4
	s_cmp_lt_u32 s33, 2
	s_waitcnt lgkmcnt(0)
	v_mul_hi_u32 v3, s1, v13
	v_add_u32_e32 v3, v13, v3
	v_lshrrev_b32_e32 v4, s2, v3
	v_mul_lo_u32 v3, v4, s0
	v_sub_u32_e32 v5, v13, v3
	v_mul_lo_u32 v3, v5, s4
	v_mul_lo_u32 v5, v5, s5
	s_cbranch_scc1 .LBB17_72
; %bb.71:
	s_load_dwordx4 s[0:3], s[34:35], 0x10
	s_load_dwordx2 s[4:5], s[34:35], 0xcc
	s_waitcnt lgkmcnt(0)
	v_mul_hi_u32 v6, s1, v4
	v_add_u32_e32 v6, v4, v6
	v_lshrrev_b32_e32 v6, s2, v6
	v_mul_lo_u32 v6, v6, s0
	v_sub_u32_e32 v6, v4, v6
	v_mad_u64_u32 v[3:4], s[0:1], v6, s4, v[3:4]
	v_mad_u64_u32 v[5:6], s[0:1], v6, s5, v[5:6]
.LBB17_72:
	s_load_dwordx4 s[4:7], s[34:35], 0x148
	v_mov_b32_e32 v4, 0x7f800000
	v_mov_b32_e32 v6, 0x7f800000
	s_waitcnt lgkmcnt(0)
	global_load_dword v8, v11, s[6:7]
	s_waitcnt vmcnt(0)
	v_cmp_neq_f32_e32 vcc, 0, v8
	s_and_saveexec_b64 s[2:3], vcc
	s_cbranch_execz .LBB17_80
; %bb.73:
	v_cmp_ngt_f32_e32 vcc, 0, v8
	v_mov_b32_e32 v6, 0x7fc00000
	s_and_saveexec_b64 s[8:9], vcc
	s_cbranch_execz .LBB17_79
; %bb.74:
	v_cmp_ge_f32_e32 vcc, 2.0, v8
                                        ; implicit-def: $vgpr6
	s_and_saveexec_b64 s[0:1], vcc
	s_xor_b64 s[10:11], exec, s[0:1]
	s_cbranch_execz .LBB17_76
; %bb.75:
	v_fma_f32 v6, v8, v8, -2.0
	v_mov_b32_e32 v10, 0x293fd856
	v_fmac_f32_e32 v10, 0x251e770f, v6
	v_mov_b32_e32 v11, 0xa51e770f
	v_fmac_f32_e32 v11, v6, v10
	v_add_f32_e32 v11, 0x2d3612e2, v11
	v_fma_f32 v10, v6, v11, -v10
	v_add_f32_e32 v10, 0x3102e09b, v10
	v_fma_f32 v11, v6, v10, -v11
	;; [unrolled: 2-line block ×7, first 2 shown]
	v_mul_f32_e32 v11, 0.5, v8
	s_mov_b32 s0, 0x800000
	v_cmp_gt_f32_e32 vcc, s0, v11
	v_cndmask_b32_e64 v12, 0, 32, vcc
	v_ldexp_f32 v11, v11, v12
	v_log_f32_e32 v11, v11
	v_add_f32_e32 v6, 0xbf090b37, v6
	v_sub_f32_e32 v6, v6, v10
	s_mov_b32 s0, 0x3f317217
	v_mul_f32_e32 v10, 0x3f317217, v11
	v_fma_f32 v10, v11, s0, -v10
	v_fmac_f32_e32 v10, 0x3377d1cf, v11
	s_mov_b32 s0, 0x7f800000
	v_fmac_f32_e32 v10, 0x3f317217, v11
	v_cmp_lt_f32_e64 s[0:1], |v11|, s0
	v_cndmask_b32_e64 v10, v11, v10, s[0:1]
	v_mul_f32_e32 v11, 0x3fb8aa3b, v8
	s_mov_b32 s0, 0x3fb8aa3b
	v_rndne_f32_e32 v12, v11
	v_sub_f32_e32 v13, v11, v12
	v_fma_f32 v11, v8, s0, -v11
	v_fmac_f32_e32 v11, 0x32a5705f, v8
	v_add_f32_e32 v11, v13, v11
	v_exp_f32_e32 v11, v11
	v_cvt_i32_f32_e32 v12, v12
	v_mov_b32_e32 v13, 0x41b17218
	s_mov_b32 s0, 0xc2ce8ed0
	v_cndmask_b32_e32 v13, 0, v13, vcc
	v_ldexp_f32 v11, v11, v12
	v_cmp_ngt_f32_e32 vcc, s0, v8
	s_mov_b32 s0, 0x42b17218
	v_cndmask_b32_e32 v11, 0, v11, vcc
	v_mov_b32_e32 v12, 0x7f800000
	v_cmp_nlt_f32_e32 vcc, s0, v8
	v_cndmask_b32_e32 v11, v12, v11, vcc
	v_fma_f32 v8, v8, 0.5, -2.0
	v_mov_b32_e32 v12, 0x24199b15
	v_sub_f32_e32 v10, v10, v13
	v_fmac_f32_e32 v12, 0xa2a2e5b9, v8
	v_mov_b32_e32 v13, 0x22a2e5b9
	v_fmac_f32_e32 v13, v8, v12
	v_add_f32_e32 v13, 0xa58c275c, v13
	v_fma_f32 v12, v8, v13, -v12
	v_add_f32_e32 v12, 0x26f736c5, v12
	v_fma_f32 v13, v8, v12, -v13
	;; [unrolled: 2-line block ×27, first 2 shown]
	v_add_f32_e32 v8, 0x3f2d4275, v8
	v_sub_f32_e32 v8, v8, v12
	v_mul_f32_e32 v8, 0.5, v8
	v_mul_f32_e32 v8, v11, v8
	v_mul_f32_e32 v8, v10, v8
	v_fma_f32 v6, v6, 0.5, -v8
	v_mul_f32_e32 v6, v11, v6
                                        ; implicit-def: $vgpr8
.LBB17_76:
	s_andn2_saveexec_b64 s[10:11], s[10:11]
	s_cbranch_execz .LBB17_78
; %bb.77:
	s_mov_b32 s12, 0x41000000
	v_div_scale_f32 v6, s[0:1], v8, v8, s12
	v_div_scale_f32 v10, vcc, s12, v8, s12
	s_mov_b32 s0, 0xf800000
	v_mul_f32_e32 v11, 0x4f800000, v8
	v_cmp_gt_f32_e64 s[0:1], s0, v8
	v_cndmask_b32_e64 v11, v8, v11, s[0:1]
	v_sqrt_f32_e32 v13, v11
	v_add_u32_e32 v16, 1, v13
	v_fma_f32 v18, -v16, v13, v11
	v_rcp_f32_e32 v12, v6
	v_fma_f32 v14, -v6, v12, 1.0
	v_fmac_f32_e32 v12, v14, v12
	v_mul_f32_e32 v14, v10, v12
	v_fma_f32 v15, -v6, v14, v10
	v_fmac_f32_e32 v14, v15, v12
	v_fma_f32 v6, -v6, v14, v10
	v_div_fmas_f32 v6, v6, v12, v14
	v_mov_b32_e32 v10, 0xa397f665
	v_mov_b32_e32 v12, 0xa2c38d2e
	v_add_u32_e32 v15, -1, v13
	v_fma_f32 v17, -v15, v13, v11
	v_cmp_ge_f32_e32 vcc, 0, v17
	v_cndmask_b32_e32 v13, v13, v15, vcc
	v_cmp_lt_f32_e32 vcc, 0, v18
	v_cndmask_b32_e32 v13, v13, v16, vcc
	v_mov_b32_e32 v14, 0x260
	v_mul_f32_e32 v15, 0x37800000, v13
	v_cndmask_b32_e64 v13, v13, v15, s[0:1]
	v_cmp_class_f32_e32 vcc, v11, v14
	v_cndmask_b32_e32 v11, v13, v11, vcc
	v_div_fixup_f32 v6, v6, v8, s12
	v_add_f32_e32 v6, -2.0, v6
	v_fmac_f32_e32 v10, 0x22c38d2e, v6
	v_fmac_f32_e32 v12, v6, v10
	v_add_f32_e32 v8, 0x24704972, v12
	v_fma_f32 v10, v6, v8, -v10
	v_add_f32_e32 v10, 0xa5417ca4, v10
	v_fma_f32 v8, v6, v10, -v8
	;; [unrolled: 2-line block ×22, first 2 shown]
	v_add_f32_e32 v6, 0x401c2ded, v6
	v_sub_f32_e32 v6, v6, v8
	v_mul_f32_e32 v6, 0.5, v6
	v_div_scale_f32 v8, s[0:1], v11, v11, v6
	v_div_scale_f32 v10, vcc, v6, v11, v6
	v_rcp_f32_e32 v12, v8
	v_fma_f32 v13, -v8, v12, 1.0
	v_fmac_f32_e32 v12, v13, v12
	v_mul_f32_e32 v13, v10, v12
	v_fma_f32 v14, -v8, v13, v10
	v_fmac_f32_e32 v13, v14, v12
	v_fma_f32 v8, -v8, v13, v10
	v_div_fmas_f32 v8, v8, v12, v13
	v_div_fixup_f32 v6, v8, v11, v6
.LBB17_78:
	s_or_b64 exec, exec, s[10:11]
.LBB17_79:
	s_or_b64 exec, exec, s[8:9]
.LBB17_80:
	s_or_b64 exec, exec, s[2:3]
	global_load_dword v8, v9, s[6:7]
	s_waitcnt vmcnt(0)
	v_cmp_neq_f32_e32 vcc, 0, v8
	s_and_saveexec_b64 s[2:3], vcc
	s_cbranch_execz .LBB17_88
; %bb.81:
	v_cmp_ngt_f32_e32 vcc, 0, v8
	v_mov_b32_e32 v4, 0x7fc00000
	s_and_saveexec_b64 s[8:9], vcc
	s_cbranch_execz .LBB17_87
; %bb.82:
	v_cmp_ge_f32_e32 vcc, 2.0, v8
                                        ; implicit-def: $vgpr4
	s_and_saveexec_b64 s[0:1], vcc
	s_xor_b64 s[10:11], exec, s[0:1]
	s_cbranch_execz .LBB17_84
; %bb.83:
	v_fma_f32 v4, v8, v8, -2.0
	v_mov_b32_e32 v9, 0x293fd856
	v_fmac_f32_e32 v9, 0x251e770f, v4
	v_mov_b32_e32 v10, 0xa51e770f
	v_fmac_f32_e32 v10, v4, v9
	v_add_f32_e32 v10, 0x2d3612e2, v10
	v_fma_f32 v9, v4, v10, -v9
	v_add_f32_e32 v9, 0x3102e09b, v9
	v_fma_f32 v10, v4, v9, -v10
	;; [unrolled: 2-line block ×7, first 2 shown]
	v_mul_f32_e32 v10, 0.5, v8
	s_mov_b32 s0, 0x800000
	v_cmp_gt_f32_e32 vcc, s0, v10
	v_cndmask_b32_e64 v11, 0, 32, vcc
	v_ldexp_f32 v10, v10, v11
	v_log_f32_e32 v10, v10
	v_add_f32_e32 v4, 0xbf090b37, v4
	v_sub_f32_e32 v4, v4, v9
	s_mov_b32 s0, 0x3f317217
	v_mul_f32_e32 v9, 0x3f317217, v10
	v_fma_f32 v9, v10, s0, -v9
	v_fmac_f32_e32 v9, 0x3377d1cf, v10
	s_mov_b32 s0, 0x7f800000
	v_fmac_f32_e32 v9, 0x3f317217, v10
	v_cmp_lt_f32_e64 s[0:1], |v10|, s0
	v_cndmask_b32_e64 v9, v10, v9, s[0:1]
	v_mul_f32_e32 v10, 0x3fb8aa3b, v8
	s_mov_b32 s0, 0x3fb8aa3b
	v_rndne_f32_e32 v11, v10
	v_sub_f32_e32 v12, v10, v11
	v_fma_f32 v10, v8, s0, -v10
	v_fmac_f32_e32 v10, 0x32a5705f, v8
	v_add_f32_e32 v10, v12, v10
	v_exp_f32_e32 v10, v10
	v_cvt_i32_f32_e32 v11, v11
	v_mov_b32_e32 v12, 0x41b17218
	s_mov_b32 s0, 0xc2ce8ed0
	v_cndmask_b32_e32 v12, 0, v12, vcc
	v_ldexp_f32 v10, v10, v11
	v_cmp_ngt_f32_e32 vcc, s0, v8
	s_mov_b32 s0, 0x42b17218
	v_cndmask_b32_e32 v10, 0, v10, vcc
	v_mov_b32_e32 v11, 0x7f800000
	v_cmp_nlt_f32_e32 vcc, s0, v8
	v_cndmask_b32_e32 v10, v11, v10, vcc
	v_fma_f32 v8, v8, 0.5, -2.0
	v_mov_b32_e32 v11, 0x24199b15
	v_sub_f32_e32 v9, v9, v12
	v_fmac_f32_e32 v11, 0xa2a2e5b9, v8
	v_mov_b32_e32 v12, 0x22a2e5b9
	v_fmac_f32_e32 v12, v8, v11
	v_add_f32_e32 v12, 0xa58c275c, v12
	v_fma_f32 v11, v8, v12, -v11
	v_add_f32_e32 v11, 0x26f736c5, v11
	v_fma_f32 v12, v8, v11, -v12
	;; [unrolled: 2-line block ×27, first 2 shown]
	v_add_f32_e32 v8, 0x3f2d4275, v8
	v_sub_f32_e32 v8, v8, v11
	v_mul_f32_e32 v8, 0.5, v8
	v_mul_f32_e32 v8, v10, v8
	v_mul_f32_e32 v8, v9, v8
	v_fma_f32 v4, v4, 0.5, -v8
	v_mul_f32_e32 v4, v10, v4
                                        ; implicit-def: $vgpr8
.LBB17_84:
	s_andn2_saveexec_b64 s[10:11], s[10:11]
	s_cbranch_execz .LBB17_86
; %bb.85:
	s_mov_b32 s12, 0x41000000
	v_div_scale_f32 v4, s[0:1], v8, v8, s12
	v_div_scale_f32 v9, vcc, s12, v8, s12
	s_mov_b32 s0, 0xf800000
	v_mul_f32_e32 v10, 0x4f800000, v8
	v_cmp_gt_f32_e64 s[0:1], s0, v8
	v_cndmask_b32_e64 v10, v8, v10, s[0:1]
	v_sqrt_f32_e32 v12, v10
	v_add_u32_e32 v15, 1, v12
	v_fma_f32 v17, -v15, v12, v10
	v_rcp_f32_e32 v11, v4
	v_fma_f32 v13, -v4, v11, 1.0
	v_fmac_f32_e32 v11, v13, v11
	v_mul_f32_e32 v13, v9, v11
	v_fma_f32 v14, -v4, v13, v9
	v_fmac_f32_e32 v13, v14, v11
	v_fma_f32 v4, -v4, v13, v9
	v_div_fmas_f32 v4, v4, v11, v13
	v_mov_b32_e32 v9, 0xa397f665
	v_mov_b32_e32 v11, 0xa2c38d2e
	v_add_u32_e32 v14, -1, v12
	v_fma_f32 v16, -v14, v12, v10
	v_cmp_ge_f32_e32 vcc, 0, v16
	v_cndmask_b32_e32 v12, v12, v14, vcc
	v_cmp_lt_f32_e32 vcc, 0, v17
	v_cndmask_b32_e32 v12, v12, v15, vcc
	v_mov_b32_e32 v13, 0x260
	v_mul_f32_e32 v14, 0x37800000, v12
	v_cndmask_b32_e64 v12, v12, v14, s[0:1]
	v_cmp_class_f32_e32 vcc, v10, v13
	v_cndmask_b32_e32 v10, v12, v10, vcc
	v_div_fixup_f32 v4, v4, v8, s12
	v_add_f32_e32 v4, -2.0, v4
	v_fmac_f32_e32 v9, 0x22c38d2e, v4
	v_fmac_f32_e32 v11, v4, v9
	v_add_f32_e32 v8, 0x24704972, v11
	v_fma_f32 v9, v4, v8, -v9
	v_add_f32_e32 v9, 0xa5417ca4, v9
	v_fma_f32 v8, v4, v9, -v8
	;; [unrolled: 2-line block ×22, first 2 shown]
	v_add_f32_e32 v4, 0x401c2ded, v4
	v_sub_f32_e32 v4, v4, v8
	v_mul_f32_e32 v4, 0.5, v4
	v_div_scale_f32 v8, s[0:1], v10, v10, v4
	v_div_scale_f32 v9, vcc, v4, v10, v4
	v_rcp_f32_e32 v11, v8
	v_fma_f32 v12, -v8, v11, 1.0
	v_fmac_f32_e32 v11, v12, v11
	v_mul_f32_e32 v12, v9, v11
	v_fma_f32 v13, -v8, v12, v9
	v_fmac_f32_e32 v12, v13, v11
	v_fma_f32 v8, -v8, v12, v9
	v_div_fmas_f32 v8, v8, v11, v12
	v_div_fixup_f32 v4, v8, v10, v4
.LBB17_86:
	s_or_b64 exec, exec, s[10:11]
.LBB17_87:
	s_or_b64 exec, exec, s[8:9]
.LBB17_88:
	s_or_b64 exec, exec, s[2:3]
	global_load_dword v9, v7, s[6:7]
	v_mov_b32_e32 v7, 0x7f800000
	v_mov_b32_e32 v8, 0x7f800000
	s_waitcnt vmcnt(0)
	v_cmp_neq_f32_e32 vcc, 0, v9
	s_and_saveexec_b64 s[2:3], vcc
	s_cbranch_execz .LBB17_96
; %bb.89:
	v_cmp_ngt_f32_e32 vcc, 0, v9
	v_mov_b32_e32 v8, 0x7fc00000
	s_and_saveexec_b64 s[8:9], vcc
	s_cbranch_execz .LBB17_95
; %bb.90:
	v_cmp_ge_f32_e32 vcc, 2.0, v9
                                        ; implicit-def: $vgpr8
	s_and_saveexec_b64 s[0:1], vcc
	s_xor_b64 s[10:11], exec, s[0:1]
	s_cbranch_execz .LBB17_92
; %bb.91:
	v_fma_f32 v8, v9, v9, -2.0
	v_mov_b32_e32 v10, 0x293fd856
	v_fmac_f32_e32 v10, 0x251e770f, v8
	v_mov_b32_e32 v11, 0xa51e770f
	v_fmac_f32_e32 v11, v8, v10
	v_add_f32_e32 v11, 0x2d3612e2, v11
	v_fma_f32 v10, v8, v11, -v10
	v_add_f32_e32 v10, 0x3102e09b, v10
	v_fma_f32 v11, v8, v10, -v11
	;; [unrolled: 2-line block ×7, first 2 shown]
	v_mul_f32_e32 v11, 0.5, v9
	s_mov_b32 s0, 0x800000
	v_cmp_gt_f32_e32 vcc, s0, v11
	v_cndmask_b32_e64 v12, 0, 32, vcc
	v_ldexp_f32 v11, v11, v12
	v_log_f32_e32 v11, v11
	v_add_f32_e32 v8, 0xbf090b37, v8
	v_sub_f32_e32 v8, v8, v10
	s_mov_b32 s0, 0x3f317217
	v_mul_f32_e32 v10, 0x3f317217, v11
	v_fma_f32 v10, v11, s0, -v10
	v_fmac_f32_e32 v10, 0x3377d1cf, v11
	s_mov_b32 s0, 0x7f800000
	v_fmac_f32_e32 v10, 0x3f317217, v11
	v_cmp_lt_f32_e64 s[0:1], |v11|, s0
	v_cndmask_b32_e64 v10, v11, v10, s[0:1]
	v_mul_f32_e32 v11, 0x3fb8aa3b, v9
	s_mov_b32 s0, 0x3fb8aa3b
	v_rndne_f32_e32 v12, v11
	v_sub_f32_e32 v13, v11, v12
	v_fma_f32 v11, v9, s0, -v11
	v_fmac_f32_e32 v11, 0x32a5705f, v9
	v_add_f32_e32 v11, v13, v11
	v_exp_f32_e32 v11, v11
	v_cvt_i32_f32_e32 v12, v12
	v_mov_b32_e32 v13, 0x41b17218
	s_mov_b32 s0, 0xc2ce8ed0
	v_cndmask_b32_e32 v13, 0, v13, vcc
	v_ldexp_f32 v11, v11, v12
	v_cmp_ngt_f32_e32 vcc, s0, v9
	s_mov_b32 s0, 0x42b17218
	v_cndmask_b32_e32 v11, 0, v11, vcc
	v_mov_b32_e32 v12, 0x7f800000
	v_cmp_nlt_f32_e32 vcc, s0, v9
	v_cndmask_b32_e32 v11, v12, v11, vcc
	v_fma_f32 v9, v9, 0.5, -2.0
	v_mov_b32_e32 v12, 0x24199b15
	v_sub_f32_e32 v10, v10, v13
	v_fmac_f32_e32 v12, 0xa2a2e5b9, v9
	v_mov_b32_e32 v13, 0x22a2e5b9
	v_fmac_f32_e32 v13, v9, v12
	v_add_f32_e32 v13, 0xa58c275c, v13
	v_fma_f32 v12, v9, v13, -v12
	v_add_f32_e32 v12, 0x26f736c5, v12
	v_fma_f32 v13, v9, v12, -v13
	;; [unrolled: 2-line block ×27, first 2 shown]
	v_add_f32_e32 v9, 0x3f2d4275, v9
	v_sub_f32_e32 v9, v9, v12
	v_mul_f32_e32 v9, 0.5, v9
	v_mul_f32_e32 v9, v11, v9
	v_mul_f32_e32 v9, v10, v9
	v_fma_f32 v8, v8, 0.5, -v9
	v_mul_f32_e32 v8, v11, v8
                                        ; implicit-def: $vgpr9
.LBB17_92:
	s_andn2_saveexec_b64 s[10:11], s[10:11]
	s_cbranch_execz .LBB17_94
; %bb.93:
	s_mov_b32 s12, 0x41000000
	v_div_scale_f32 v8, s[0:1], v9, v9, s12
	v_div_scale_f32 v10, vcc, s12, v9, s12
	s_mov_b32 s0, 0xf800000
	v_mul_f32_e32 v11, 0x4f800000, v9
	v_cmp_gt_f32_e64 s[0:1], s0, v9
	v_cndmask_b32_e64 v11, v9, v11, s[0:1]
	v_sqrt_f32_e32 v13, v11
	v_add_u32_e32 v16, 1, v13
	v_fma_f32 v18, -v16, v13, v11
	v_rcp_f32_e32 v12, v8
	v_fma_f32 v14, -v8, v12, 1.0
	v_fmac_f32_e32 v12, v14, v12
	v_mul_f32_e32 v14, v10, v12
	v_fma_f32 v15, -v8, v14, v10
	v_fmac_f32_e32 v14, v15, v12
	v_fma_f32 v8, -v8, v14, v10
	v_div_fmas_f32 v8, v8, v12, v14
	v_mov_b32_e32 v10, 0xa397f665
	v_mov_b32_e32 v12, 0xa2c38d2e
	v_add_u32_e32 v15, -1, v13
	v_fma_f32 v17, -v15, v13, v11
	v_cmp_ge_f32_e32 vcc, 0, v17
	v_cndmask_b32_e32 v13, v13, v15, vcc
	v_cmp_lt_f32_e32 vcc, 0, v18
	v_cndmask_b32_e32 v13, v13, v16, vcc
	v_mov_b32_e32 v14, 0x260
	v_mul_f32_e32 v15, 0x37800000, v13
	v_cndmask_b32_e64 v13, v13, v15, s[0:1]
	v_cmp_class_f32_e32 vcc, v11, v14
	v_cndmask_b32_e32 v11, v13, v11, vcc
	v_div_fixup_f32 v8, v8, v9, s12
	v_add_f32_e32 v8, -2.0, v8
	v_fmac_f32_e32 v10, 0x22c38d2e, v8
	v_fmac_f32_e32 v12, v8, v10
	v_add_f32_e32 v9, 0x24704972, v12
	v_fma_f32 v10, v8, v9, -v10
	v_add_f32_e32 v10, 0xa5417ca4, v10
	v_fma_f32 v9, v8, v10, -v9
	;; [unrolled: 2-line block ×22, first 2 shown]
	v_add_f32_e32 v8, 0x401c2ded, v8
	v_sub_f32_e32 v8, v8, v9
	v_mul_f32_e32 v8, 0.5, v8
	v_div_scale_f32 v9, s[0:1], v11, v11, v8
	v_div_scale_f32 v10, vcc, v8, v11, v8
	v_rcp_f32_e32 v12, v9
	v_fma_f32 v13, -v9, v12, 1.0
	v_fmac_f32_e32 v12, v13, v12
	v_mul_f32_e32 v13, v10, v12
	v_fma_f32 v14, -v9, v13, v10
	v_fmac_f32_e32 v13, v14, v12
	v_fma_f32 v9, -v9, v13, v10
	v_div_fmas_f32 v9, v9, v12, v13
	v_div_fixup_f32 v8, v9, v11, v8
.LBB17_94:
	s_or_b64 exec, exec, s[10:11]
.LBB17_95:
	s_or_b64 exec, exec, s[8:9]
.LBB17_96:
	s_or_b64 exec, exec, s[2:3]
	global_load_dword v5, v5, s[6:7]
	s_waitcnt vmcnt(0)
	v_cmp_neq_f32_e32 vcc, 0, v5
	s_and_saveexec_b64 s[2:3], vcc
	s_cbranch_execz .LBB17_104
; %bb.97:
	v_cmp_ngt_f32_e32 vcc, 0, v5
	v_mov_b32_e32 v7, 0x7fc00000
	s_and_saveexec_b64 s[6:7], vcc
	s_cbranch_execz .LBB17_103
; %bb.98:
	v_cmp_ge_f32_e32 vcc, 2.0, v5
                                        ; implicit-def: $vgpr7
	s_and_saveexec_b64 s[0:1], vcc
	s_xor_b64 s[8:9], exec, s[0:1]
	s_cbranch_execz .LBB17_100
; %bb.99:
	v_fma_f32 v7, v5, v5, -2.0
	v_mov_b32_e32 v9, 0x293fd856
	v_fmac_f32_e32 v9, 0x251e770f, v7
	v_mov_b32_e32 v10, 0xa51e770f
	v_fmac_f32_e32 v10, v7, v9
	v_add_f32_e32 v10, 0x2d3612e2, v10
	v_fma_f32 v9, v7, v10, -v9
	v_add_f32_e32 v9, 0x3102e09b, v9
	v_fma_f32 v10, v7, v9, -v10
	v_add_f32_e32 v10, 0x348815e7, v10
	v_fma_f32 v9, v7, v10, -v9
	v_add_f32_e32 v9, 0x37bfc808, v9
	v_fma_f32 v10, v7, v9, -v10
	v_add_f32_e32 v10, 0x3aa5c174, v10
	v_fma_f32 v9, v7, v10, -v9
	v_add_f32_e32 v9, 0x3d135fb3, v9
	v_fma_f32 v10, v7, v9, -v10
	v_add_f32_e32 v10, 0x3eb046c4, v10
	v_fma_f32 v7, v7, v10, -v9
	v_mul_f32_e32 v10, 0.5, v5
	s_mov_b32 s0, 0x800000
	v_cmp_gt_f32_e32 vcc, s0, v10
	v_cndmask_b32_e64 v11, 0, 32, vcc
	v_ldexp_f32 v10, v10, v11
	v_log_f32_e32 v10, v10
	v_add_f32_e32 v7, 0xbf090b37, v7
	v_sub_f32_e32 v7, v7, v9
	s_mov_b32 s0, 0x3f317217
	v_mul_f32_e32 v9, 0x3f317217, v10
	v_fma_f32 v9, v10, s0, -v9
	v_fmac_f32_e32 v9, 0x3377d1cf, v10
	s_mov_b32 s0, 0x7f800000
	v_fmac_f32_e32 v9, 0x3f317217, v10
	v_cmp_lt_f32_e64 s[0:1], |v10|, s0
	v_cndmask_b32_e64 v9, v10, v9, s[0:1]
	v_mul_f32_e32 v10, 0x3fb8aa3b, v5
	s_mov_b32 s0, 0x3fb8aa3b
	v_rndne_f32_e32 v11, v10
	v_sub_f32_e32 v12, v10, v11
	v_fma_f32 v10, v5, s0, -v10
	v_fmac_f32_e32 v10, 0x32a5705f, v5
	v_add_f32_e32 v10, v12, v10
	v_exp_f32_e32 v10, v10
	v_cvt_i32_f32_e32 v11, v11
	v_mov_b32_e32 v12, 0x41b17218
	s_mov_b32 s0, 0xc2ce8ed0
	v_cndmask_b32_e32 v12, 0, v12, vcc
	v_ldexp_f32 v10, v10, v11
	v_cmp_ngt_f32_e32 vcc, s0, v5
	s_mov_b32 s0, 0x42b17218
	v_cndmask_b32_e32 v10, 0, v10, vcc
	v_mov_b32_e32 v11, 0x7f800000
	v_cmp_nlt_f32_e32 vcc, s0, v5
	v_cndmask_b32_e32 v10, v11, v10, vcc
	v_fma_f32 v5, v5, 0.5, -2.0
	v_mov_b32_e32 v11, 0x24199b15
	v_sub_f32_e32 v9, v9, v12
	v_fmac_f32_e32 v11, 0xa2a2e5b9, v5
	v_mov_b32_e32 v12, 0x22a2e5b9
	v_fmac_f32_e32 v12, v5, v11
	v_add_f32_e32 v12, 0xa58c275c, v12
	v_fma_f32 v11, v5, v12, -v11
	v_add_f32_e32 v11, 0x26f736c5, v11
	v_fma_f32 v12, v5, v11, -v12
	;; [unrolled: 2-line block ×27, first 2 shown]
	v_add_f32_e32 v5, 0x3f2d4275, v5
	v_sub_f32_e32 v5, v5, v11
	v_mul_f32_e32 v5, 0.5, v5
	v_mul_f32_e32 v5, v10, v5
	v_mul_f32_e32 v5, v9, v5
	v_fma_f32 v5, v7, 0.5, -v5
	v_mul_f32_e32 v7, v10, v5
                                        ; implicit-def: $vgpr5
.LBB17_100:
	s_andn2_saveexec_b64 s[8:9], s[8:9]
	s_cbranch_execz .LBB17_102
; %bb.101:
	s_mov_b32 s10, 0x41000000
	v_div_scale_f32 v7, s[0:1], v5, v5, s10
	v_div_scale_f32 v9, vcc, s10, v5, s10
	s_mov_b32 s0, 0xf800000
	v_mul_f32_e32 v10, 0x4f800000, v5
	v_cmp_gt_f32_e64 s[0:1], s0, v5
	v_cndmask_b32_e64 v10, v5, v10, s[0:1]
	v_sqrt_f32_e32 v12, v10
	v_add_u32_e32 v15, 1, v12
	v_fma_f32 v17, -v15, v12, v10
	v_rcp_f32_e32 v11, v7
	v_fma_f32 v13, -v7, v11, 1.0
	v_fmac_f32_e32 v11, v13, v11
	v_mul_f32_e32 v13, v9, v11
	v_fma_f32 v14, -v7, v13, v9
	v_fmac_f32_e32 v13, v14, v11
	v_fma_f32 v7, -v7, v13, v9
	v_div_fmas_f32 v7, v7, v11, v13
	v_mov_b32_e32 v9, 0xa397f665
	v_mov_b32_e32 v11, 0xa2c38d2e
	v_add_u32_e32 v14, -1, v12
	v_fma_f32 v16, -v14, v12, v10
	v_cmp_ge_f32_e32 vcc, 0, v16
	v_cndmask_b32_e32 v12, v12, v14, vcc
	v_cmp_lt_f32_e32 vcc, 0, v17
	v_cndmask_b32_e32 v12, v12, v15, vcc
	v_mov_b32_e32 v13, 0x260
	v_mul_f32_e32 v14, 0x37800000, v12
	v_cndmask_b32_e64 v12, v12, v14, s[0:1]
	v_cmp_class_f32_e32 vcc, v10, v13
	v_cndmask_b32_e32 v10, v12, v10, vcc
	v_div_fixup_f32 v5, v7, v5, s10
	v_add_f32_e32 v5, -2.0, v5
	v_fmac_f32_e32 v9, 0x22c38d2e, v5
	v_fmac_f32_e32 v11, v5, v9
	v_add_f32_e32 v7, 0x24704972, v11
	v_fma_f32 v9, v5, v7, -v9
	v_add_f32_e32 v9, 0xa5417ca4, v9
	v_fma_f32 v7, v5, v9, -v7
	;; [unrolled: 2-line block ×22, first 2 shown]
	v_add_f32_e32 v5, 0x401c2ded, v5
	v_sub_f32_e32 v5, v5, v7
	v_mul_f32_e32 v5, 0.5, v5
	v_div_scale_f32 v7, s[0:1], v10, v10, v5
	v_div_scale_f32 v9, vcc, v5, v10, v5
	v_rcp_f32_e32 v11, v7
	v_fma_f32 v12, -v7, v11, 1.0
	v_fmac_f32_e32 v11, v12, v11
	v_mul_f32_e32 v12, v9, v11
	v_fma_f32 v13, -v7, v12, v9
	v_fmac_f32_e32 v12, v13, v11
	v_fma_f32 v7, -v7, v12, v9
	v_div_fmas_f32 v7, v7, v11, v12
	v_div_fixup_f32 v7, v7, v10, v5
.LBB17_102:
	s_or_b64 exec, exec, s[8:9]
.LBB17_103:
	s_or_b64 exec, exec, s[6:7]
.LBB17_104:
	s_or_b64 exec, exec, s[2:3]
	global_store_dword v0, v6, s[4:5]
	global_store_dword v1, v4, s[4:5]
	;; [unrolled: 1-line block ×4, first 2 shown]
	s_endpgm
.LBB17_105:
	v_mov_b32_e32 v0, 0
	v_mov_b32_e32 v2, 0
	s_branch .LBB17_111
.LBB17_106:
	v_mov_b32_e32 v0, 0
	v_mov_b32_e32 v2, 0
	s_branch .LBB17_135
.LBB17_107:
	s_mov_b32 s57, 0
	v_mov_b32_e32 v0, 0
	v_mov_b32_e32 v2, 0
	;; [unrolled: 1-line block ×3, first 2 shown]
.LBB17_108:
	s_and_b32 s4, s58, 3
	s_cmp_eq_u32 s4, 0
	s_cbranch_scc1 .LBB17_111
; %bb.109:
	s_lshl_b32 s0, s57, 3
	s_add_u32 s0, s34, s0
	s_addc_u32 s1, s35, 0
	s_add_u32 s0, s0, 0xc4
	s_addc_u32 s1, s1, 0
	s_mul_i32 s2, s57, 12
	s_add_u32 s2, s34, s2
	s_addc_u32 s3, s35, 0
.LBB17_110:                             ; =>This Inner Loop Header: Depth=1
	s_load_dwordx2 s[6:7], s[2:3], 0x4
	s_load_dword s5, s[2:3], 0xc
	s_load_dwordx2 s[8:9], s[0:1], 0x0
	s_add_u32 s2, s2, 12
	s_addc_u32 s3, s3, 0
	s_waitcnt lgkmcnt(0)
	v_mul_hi_u32 v3, s7, v1
	s_add_u32 s0, s0, 8
	s_addc_u32 s1, s1, 0
	s_add_i32 s4, s4, -1
	v_add_u32_e32 v3, v1, v3
	v_lshrrev_b32_e32 v5, s5, v3
	v_mul_lo_u32 v3, v5, s6
	s_cmp_lg_u32 s4, 0
	v_sub_u32_e32 v3, v1, v3
	v_mad_u64_u32 v[0:1], s[6:7], v3, s8, v[0:1]
	v_mad_u64_u32 v[2:3], s[6:7], v3, s9, v[2:3]
	v_mov_b32_e32 v1, v5
	s_cbranch_scc1 .LBB17_110
.LBB17_111:
	s_cbranch_execnz .LBB17_114
.LBB17_112:
	s_waitcnt lgkmcnt(0)
	v_mul_hi_u32 v0, s25, v4
	s_andn2_b64 vcc, exec, s[42:43]
	v_add_u32_e32 v0, v4, v0
	v_lshrrev_b32_e32 v1, s26, v0
	v_mul_lo_u32 v0, v1, s24
	v_sub_u32_e32 v2, v4, v0
	v_mul_lo_u32 v0, v2, s20
	v_mul_lo_u32 v2, v2, s21
	s_cbranch_vccnz .LBB17_114
; %bb.113:
	v_mul_hi_u32 v3, s40, v1
	v_add_u32_e32 v3, v1, v3
	v_lshrrev_b32_e32 v3, s41, v3
	v_mul_lo_u32 v3, v3, s27
	v_sub_u32_e32 v3, v1, v3
	v_mad_u64_u32 v[0:1], s[0:1], v3, s22, v[0:1]
	v_mad_u64_u32 v[2:3], s[0:1], v3, s23, v[2:3]
.LBB17_114:
	s_waitcnt lgkmcnt(0)
	global_load_dword v1, v2, s[18:19]
	v_mov_b32_e32 v2, 0x7f800000
	s_waitcnt vmcnt(0)
	v_cmp_neq_f32_e32 vcc, 0, v1
	s_and_saveexec_b64 s[2:3], vcc
	s_cbranch_execz .LBB17_122
; %bb.115:
	v_cmp_ngt_f32_e32 vcc, 0, v1
	v_mov_b32_e32 v2, 0x7fc00000
	s_and_saveexec_b64 s[4:5], vcc
	s_cbranch_execz .LBB17_121
; %bb.116:
	v_cmp_ge_f32_e32 vcc, 2.0, v1
                                        ; implicit-def: $vgpr2
	s_and_saveexec_b64 s[0:1], vcc
	s_xor_b64 s[6:7], exec, s[0:1]
	s_cbranch_execz .LBB17_118
; %bb.117:
	v_fma_f32 v2, v1, v1, -2.0
	v_mov_b32_e32 v3, 0x293fd856
	v_fmac_f32_e32 v3, 0x251e770f, v2
	v_mov_b32_e32 v5, 0xa51e770f
	v_fmac_f32_e32 v5, v2, v3
	v_add_f32_e32 v5, 0x2d3612e2, v5
	v_fma_f32 v3, v2, v5, -v3
	v_add_f32_e32 v3, 0x3102e09b, v3
	v_fma_f32 v5, v2, v3, -v5
	;; [unrolled: 2-line block ×7, first 2 shown]
	v_mul_f32_e32 v5, 0.5, v1
	s_mov_b32 s0, 0x800000
	v_cmp_gt_f32_e32 vcc, s0, v5
	v_cndmask_b32_e64 v6, 0, 32, vcc
	v_ldexp_f32 v5, v5, v6
	v_log_f32_e32 v5, v5
	v_add_f32_e32 v2, 0xbf090b37, v2
	v_sub_f32_e32 v2, v2, v3
	s_mov_b32 s0, 0x3f317217
	v_mul_f32_e32 v3, 0x3f317217, v5
	v_fma_f32 v3, v5, s0, -v3
	v_fmac_f32_e32 v3, 0x3377d1cf, v5
	s_mov_b32 s0, 0x7f800000
	v_fmac_f32_e32 v3, 0x3f317217, v5
	v_cmp_lt_f32_e64 s[0:1], |v5|, s0
	v_cndmask_b32_e64 v3, v5, v3, s[0:1]
	v_mul_f32_e32 v5, 0x3fb8aa3b, v1
	s_mov_b32 s0, 0x3fb8aa3b
	v_rndne_f32_e32 v6, v5
	v_sub_f32_e32 v7, v5, v6
	v_fma_f32 v5, v1, s0, -v5
	v_fmac_f32_e32 v5, 0x32a5705f, v1
	v_add_f32_e32 v5, v7, v5
	v_exp_f32_e32 v5, v5
	v_cvt_i32_f32_e32 v6, v6
	v_mov_b32_e32 v7, 0x41b17218
	s_mov_b32 s0, 0xc2ce8ed0
	v_cndmask_b32_e32 v7, 0, v7, vcc
	v_ldexp_f32 v5, v5, v6
	v_cmp_ngt_f32_e32 vcc, s0, v1
	s_mov_b32 s0, 0x42b17218
	v_cndmask_b32_e32 v5, 0, v5, vcc
	v_mov_b32_e32 v6, 0x7f800000
	v_cmp_nlt_f32_e32 vcc, s0, v1
	v_cndmask_b32_e32 v5, v6, v5, vcc
	v_fma_f32 v1, v1, 0.5, -2.0
	v_mov_b32_e32 v6, 0x24199b15
	v_sub_f32_e32 v3, v3, v7
	v_fmac_f32_e32 v6, 0xa2a2e5b9, v1
	v_mov_b32_e32 v7, 0x22a2e5b9
	v_fmac_f32_e32 v7, v1, v6
	v_add_f32_e32 v7, 0xa58c275c, v7
	v_fma_f32 v6, v1, v7, -v6
	v_add_f32_e32 v6, 0x26f736c5, v6
	v_fma_f32 v7, v1, v6, -v7
	;; [unrolled: 2-line block ×27, first 2 shown]
	v_add_f32_e32 v1, 0x3f2d4275, v1
	v_sub_f32_e32 v1, v1, v6
	v_mul_f32_e32 v1, 0.5, v1
	v_mul_f32_e32 v1, v5, v1
	v_mul_f32_e32 v1, v3, v1
	v_fma_f32 v1, v2, 0.5, -v1
	v_mul_f32_e32 v2, v5, v1
                                        ; implicit-def: $vgpr1
.LBB17_118:
	s_andn2_saveexec_b64 s[6:7], s[6:7]
	s_cbranch_execz .LBB17_120
; %bb.119:
	s_mov_b32 s8, 0x41000000
	v_div_scale_f32 v2, s[0:1], v1, v1, s8
	v_div_scale_f32 v3, vcc, s8, v1, s8
	s_mov_b32 s0, 0xf800000
	v_mul_f32_e32 v5, 0x4f800000, v1
	v_cmp_gt_f32_e64 s[0:1], s0, v1
	v_cndmask_b32_e64 v5, v1, v5, s[0:1]
	v_sqrt_f32_e32 v7, v5
	v_add_u32_e32 v10, 1, v7
	v_fma_f32 v12, -v10, v7, v5
	v_rcp_f32_e32 v6, v2
	v_fma_f32 v8, -v2, v6, 1.0
	v_fmac_f32_e32 v6, v8, v6
	v_mul_f32_e32 v8, v3, v6
	v_fma_f32 v9, -v2, v8, v3
	v_fmac_f32_e32 v8, v9, v6
	v_fma_f32 v2, -v2, v8, v3
	v_div_fmas_f32 v2, v2, v6, v8
	v_mov_b32_e32 v3, 0xa397f665
	v_mov_b32_e32 v6, 0xa2c38d2e
	v_add_u32_e32 v9, -1, v7
	v_fma_f32 v11, -v9, v7, v5
	v_cmp_ge_f32_e32 vcc, 0, v11
	v_cndmask_b32_e32 v7, v7, v9, vcc
	v_cmp_lt_f32_e32 vcc, 0, v12
	v_cndmask_b32_e32 v7, v7, v10, vcc
	v_mov_b32_e32 v8, 0x260
	v_mul_f32_e32 v9, 0x37800000, v7
	v_cndmask_b32_e64 v7, v7, v9, s[0:1]
	v_cmp_class_f32_e32 vcc, v5, v8
	v_cndmask_b32_e32 v5, v7, v5, vcc
	v_div_fixup_f32 v1, v2, v1, s8
	v_add_f32_e32 v1, -2.0, v1
	v_fmac_f32_e32 v3, 0x22c38d2e, v1
	v_fmac_f32_e32 v6, v1, v3
	v_add_f32_e32 v2, 0x24704972, v6
	v_fma_f32 v3, v1, v2, -v3
	v_add_f32_e32 v3, 0xa5417ca4, v3
	v_fma_f32 v2, v1, v3, -v2
	;; [unrolled: 2-line block ×22, first 2 shown]
	v_add_f32_e32 v1, 0x401c2ded, v1
	v_sub_f32_e32 v1, v1, v2
	v_mul_f32_e32 v1, 0.5, v1
	v_div_scale_f32 v2, s[0:1], v5, v5, v1
	v_div_scale_f32 v3, vcc, v1, v5, v1
	v_rcp_f32_e32 v6, v2
	v_fma_f32 v7, -v2, v6, 1.0
	v_fmac_f32_e32 v6, v7, v6
	v_mul_f32_e32 v7, v3, v6
	v_fma_f32 v8, -v2, v7, v3
	v_fmac_f32_e32 v7, v8, v6
	v_fma_f32 v2, -v2, v7, v3
	v_div_fmas_f32 v2, v2, v6, v7
	v_div_fixup_f32 v2, v2, v5, v1
.LBB17_120:
	s_or_b64 exec, exec, s[6:7]
.LBB17_121:
	s_or_b64 exec, exec, s[4:5]
.LBB17_122:
	s_or_b64 exec, exec, s[2:3]
	v_add_u32_e32 v4, 0x80, v4
	global_store_dword v0, v2, s[16:17]
	s_or_b64 exec, exec, s[48:49]
	v_cmp_gt_i32_e32 vcc, s55, v4
	s_and_saveexec_b64 s[48:49], vcc
	s_cbranch_execnz .LBB17_15
.LBB17_123:
	s_or_b64 exec, exec, s[48:49]
	v_cmp_gt_i32_e32 vcc, s55, v4
	s_and_saveexec_b64 s[48:49], vcc
	s_cbranch_execz .LBB17_147
.LBB17_124:
	s_andn2_b64 vcc, exec, s[36:37]
	s_cbranch_vccnz .LBB17_129
; %bb.125:
	s_andn2_b64 vcc, exec, s[46:47]
	s_cbranch_vccnz .LBB17_130
; %bb.126:
	s_add_i32 s58, s56, 1
	s_cmp_eq_u32 s54, 2
	s_cbranch_scc1 .LBB17_150
; %bb.127:
	s_and_b32 s57, s58, 28
	v_mov_b32_e32 v2, 0
	s_mov_b32 s59, 0
	s_mov_b64 s[50:51], s[34:35]
	s_mov_b64 s[52:53], s[44:45]
	v_mov_b32_e32 v0, 0
	v_mov_b32_e32 v1, v4
.LBB17_128:                             ; =>This Inner Loop Header: Depth=1
	s_load_dwordx8 s[8:15], s[50:51], 0x4
	s_load_dwordx4 s[28:31], s[50:51], 0x24
	s_load_dwordx8 s[0:7], s[52:53], 0x0
	s_add_u32 s50, s50, 48
	s_addc_u32 s51, s51, 0
	s_waitcnt lgkmcnt(0)
	v_mul_hi_u32 v3, s9, v1
	s_add_i32 s59, s59, 4
	s_add_u32 s52, s52, 32
	s_addc_u32 s53, s53, 0
	v_add_u32_e32 v3, v1, v3
	v_lshrrev_b32_e32 v3, s10, v3
	v_mul_lo_u32 v5, v3, s8
	v_mul_hi_u32 v6, s12, v3
	s_cmp_eq_u32 s57, s59
	v_sub_u32_e32 v1, v1, v5
	v_add_u32_e32 v5, v3, v6
	v_mul_lo_u32 v6, v1, s0
	v_mul_lo_u32 v7, v1, s1
	v_lshrrev_b32_e32 v1, s13, v5
	v_mul_lo_u32 v5, v1, s11
	v_mul_hi_u32 v8, s15, v1
	v_sub_u32_e32 v3, v3, v5
	v_add_u32_e32 v5, v1, v8
	v_lshrrev_b32_e32 v5, s28, v5
	v_mul_hi_u32 v9, s30, v5
	v_mul_lo_u32 v10, v5, s14
	v_mul_lo_u32 v8, v3, s2
	;; [unrolled: 1-line block ×3, first 2 shown]
	v_sub_u32_e32 v10, v1, v10
	v_add_u32_e32 v1, v5, v9
	v_lshrrev_b32_e32 v1, s31, v1
	v_mul_lo_u32 v9, v1, s29
	v_mul_lo_u32 v11, v10, s4
	;; [unrolled: 1-line block ×3, first 2 shown]
	v_add3_u32 v0, v6, v0, v8
	v_sub_u32_e32 v5, v5, v9
	v_mul_lo_u32 v9, v5, s6
	v_mul_lo_u32 v5, v5, s7
	v_add3_u32 v2, v7, v2, v3
	v_add3_u32 v0, v11, v0, v9
	;; [unrolled: 1-line block ×3, first 2 shown]
	s_cbranch_scc0 .LBB17_128
	s_branch .LBB17_151
.LBB17_129:
                                        ; implicit-def: $vgpr0
                                        ; implicit-def: $vgpr2
	s_branch .LBB17_155
.LBB17_130:
	v_mov_b32_e32 v0, 0
	v_mov_b32_e32 v2, 0
	s_branch .LBB17_154
.LBB17_131:
	s_mov_b32 s57, 0
	v_mov_b32_e32 v0, 0
	v_mov_b32_e32 v2, 0
	;; [unrolled: 1-line block ×3, first 2 shown]
.LBB17_132:
	s_and_b32 s4, s58, 3
	s_cmp_eq_u32 s4, 0
	s_cbranch_scc1 .LBB17_135
; %bb.133:
	s_lshl_b32 s0, s57, 3
	s_add_u32 s0, s34, s0
	s_addc_u32 s1, s35, 0
	s_add_u32 s0, s0, 0xc4
	s_addc_u32 s1, s1, 0
	s_mul_i32 s2, s57, 12
	s_add_u32 s2, s34, s2
	s_addc_u32 s3, s35, 0
.LBB17_134:                             ; =>This Inner Loop Header: Depth=1
	s_load_dwordx2 s[6:7], s[2:3], 0x4
	s_load_dword s5, s[2:3], 0xc
	s_load_dwordx2 s[8:9], s[0:1], 0x0
	s_add_u32 s2, s2, 12
	s_addc_u32 s3, s3, 0
	s_waitcnt lgkmcnt(0)
	v_mul_hi_u32 v3, s7, v1
	s_add_u32 s0, s0, 8
	s_addc_u32 s1, s1, 0
	s_add_i32 s4, s4, -1
	v_add_u32_e32 v3, v1, v3
	v_lshrrev_b32_e32 v5, s5, v3
	v_mul_lo_u32 v3, v5, s6
	s_cmp_lg_u32 s4, 0
	v_sub_u32_e32 v3, v1, v3
	v_mad_u64_u32 v[0:1], s[6:7], v3, s8, v[0:1]
	v_mad_u64_u32 v[2:3], s[6:7], v3, s9, v[2:3]
	v_mov_b32_e32 v1, v5
	s_cbranch_scc1 .LBB17_134
.LBB17_135:
	s_cbranch_execnz .LBB17_138
.LBB17_136:
	s_waitcnt lgkmcnt(0)
	v_mul_hi_u32 v0, s25, v4
	s_andn2_b64 vcc, exec, s[42:43]
	v_add_u32_e32 v0, v4, v0
	v_lshrrev_b32_e32 v1, s26, v0
	v_mul_lo_u32 v0, v1, s24
	v_sub_u32_e32 v2, v4, v0
	v_mul_lo_u32 v0, v2, s20
	v_mul_lo_u32 v2, v2, s21
	s_cbranch_vccnz .LBB17_138
; %bb.137:
	v_mul_hi_u32 v3, s40, v1
	v_add_u32_e32 v3, v1, v3
	v_lshrrev_b32_e32 v3, s41, v3
	v_mul_lo_u32 v3, v3, s27
	v_sub_u32_e32 v3, v1, v3
	v_mad_u64_u32 v[0:1], s[0:1], v3, s22, v[0:1]
	v_mad_u64_u32 v[2:3], s[0:1], v3, s23, v[2:3]
.LBB17_138:
	s_waitcnt lgkmcnt(0)
	global_load_dword v1, v2, s[18:19]
	v_mov_b32_e32 v2, 0x7f800000
	s_waitcnt vmcnt(0)
	v_cmp_neq_f32_e32 vcc, 0, v1
	s_and_saveexec_b64 s[2:3], vcc
	s_cbranch_execz .LBB17_146
; %bb.139:
	v_cmp_ngt_f32_e32 vcc, 0, v1
	v_mov_b32_e32 v2, 0x7fc00000
	s_and_saveexec_b64 s[4:5], vcc
	s_cbranch_execz .LBB17_145
; %bb.140:
	v_cmp_ge_f32_e32 vcc, 2.0, v1
                                        ; implicit-def: $vgpr2
	s_and_saveexec_b64 s[0:1], vcc
	s_xor_b64 s[6:7], exec, s[0:1]
	s_cbranch_execz .LBB17_142
; %bb.141:
	v_fma_f32 v2, v1, v1, -2.0
	v_mov_b32_e32 v3, 0x293fd856
	v_fmac_f32_e32 v3, 0x251e770f, v2
	v_mov_b32_e32 v5, 0xa51e770f
	v_fmac_f32_e32 v5, v2, v3
	v_add_f32_e32 v5, 0x2d3612e2, v5
	v_fma_f32 v3, v2, v5, -v3
	v_add_f32_e32 v3, 0x3102e09b, v3
	v_fma_f32 v5, v2, v3, -v5
	;; [unrolled: 2-line block ×7, first 2 shown]
	v_mul_f32_e32 v5, 0.5, v1
	s_mov_b32 s0, 0x800000
	v_cmp_gt_f32_e32 vcc, s0, v5
	v_cndmask_b32_e64 v6, 0, 32, vcc
	v_ldexp_f32 v5, v5, v6
	v_log_f32_e32 v5, v5
	v_add_f32_e32 v2, 0xbf090b37, v2
	v_sub_f32_e32 v2, v2, v3
	s_mov_b32 s0, 0x3f317217
	v_mul_f32_e32 v3, 0x3f317217, v5
	v_fma_f32 v3, v5, s0, -v3
	v_fmac_f32_e32 v3, 0x3377d1cf, v5
	s_mov_b32 s0, 0x7f800000
	v_fmac_f32_e32 v3, 0x3f317217, v5
	v_cmp_lt_f32_e64 s[0:1], |v5|, s0
	v_cndmask_b32_e64 v3, v5, v3, s[0:1]
	v_mul_f32_e32 v5, 0x3fb8aa3b, v1
	s_mov_b32 s0, 0x3fb8aa3b
	v_rndne_f32_e32 v6, v5
	v_sub_f32_e32 v7, v5, v6
	v_fma_f32 v5, v1, s0, -v5
	v_fmac_f32_e32 v5, 0x32a5705f, v1
	v_add_f32_e32 v5, v7, v5
	v_exp_f32_e32 v5, v5
	v_cvt_i32_f32_e32 v6, v6
	v_mov_b32_e32 v7, 0x41b17218
	s_mov_b32 s0, 0xc2ce8ed0
	v_cndmask_b32_e32 v7, 0, v7, vcc
	v_ldexp_f32 v5, v5, v6
	v_cmp_ngt_f32_e32 vcc, s0, v1
	s_mov_b32 s0, 0x42b17218
	v_cndmask_b32_e32 v5, 0, v5, vcc
	v_mov_b32_e32 v6, 0x7f800000
	v_cmp_nlt_f32_e32 vcc, s0, v1
	v_cndmask_b32_e32 v5, v6, v5, vcc
	v_fma_f32 v1, v1, 0.5, -2.0
	v_mov_b32_e32 v6, 0x24199b15
	v_sub_f32_e32 v3, v3, v7
	v_fmac_f32_e32 v6, 0xa2a2e5b9, v1
	v_mov_b32_e32 v7, 0x22a2e5b9
	v_fmac_f32_e32 v7, v1, v6
	v_add_f32_e32 v7, 0xa58c275c, v7
	v_fma_f32 v6, v1, v7, -v6
	v_add_f32_e32 v6, 0x26f736c5, v6
	v_fma_f32 v7, v1, v6, -v7
	;; [unrolled: 2-line block ×27, first 2 shown]
	v_add_f32_e32 v1, 0x3f2d4275, v1
	v_sub_f32_e32 v1, v1, v6
	v_mul_f32_e32 v1, 0.5, v1
	v_mul_f32_e32 v1, v5, v1
	v_mul_f32_e32 v1, v3, v1
	v_fma_f32 v1, v2, 0.5, -v1
	v_mul_f32_e32 v2, v5, v1
                                        ; implicit-def: $vgpr1
.LBB17_142:
	s_andn2_saveexec_b64 s[6:7], s[6:7]
	s_cbranch_execz .LBB17_144
; %bb.143:
	s_mov_b32 s8, 0x41000000
	v_div_scale_f32 v2, s[0:1], v1, v1, s8
	v_div_scale_f32 v3, vcc, s8, v1, s8
	s_mov_b32 s0, 0xf800000
	v_mul_f32_e32 v5, 0x4f800000, v1
	v_cmp_gt_f32_e64 s[0:1], s0, v1
	v_cndmask_b32_e64 v5, v1, v5, s[0:1]
	v_sqrt_f32_e32 v7, v5
	v_add_u32_e32 v10, 1, v7
	v_fma_f32 v12, -v10, v7, v5
	v_rcp_f32_e32 v6, v2
	v_fma_f32 v8, -v2, v6, 1.0
	v_fmac_f32_e32 v6, v8, v6
	v_mul_f32_e32 v8, v3, v6
	v_fma_f32 v9, -v2, v8, v3
	v_fmac_f32_e32 v8, v9, v6
	v_fma_f32 v2, -v2, v8, v3
	v_div_fmas_f32 v2, v2, v6, v8
	v_mov_b32_e32 v3, 0xa397f665
	v_mov_b32_e32 v6, 0xa2c38d2e
	v_add_u32_e32 v9, -1, v7
	v_fma_f32 v11, -v9, v7, v5
	v_cmp_ge_f32_e32 vcc, 0, v11
	v_cndmask_b32_e32 v7, v7, v9, vcc
	v_cmp_lt_f32_e32 vcc, 0, v12
	v_cndmask_b32_e32 v7, v7, v10, vcc
	v_mov_b32_e32 v8, 0x260
	v_mul_f32_e32 v9, 0x37800000, v7
	v_cndmask_b32_e64 v7, v7, v9, s[0:1]
	v_cmp_class_f32_e32 vcc, v5, v8
	v_cndmask_b32_e32 v5, v7, v5, vcc
	v_div_fixup_f32 v1, v2, v1, s8
	v_add_f32_e32 v1, -2.0, v1
	v_fmac_f32_e32 v3, 0x22c38d2e, v1
	v_fmac_f32_e32 v6, v1, v3
	v_add_f32_e32 v2, 0x24704972, v6
	v_fma_f32 v3, v1, v2, -v3
	v_add_f32_e32 v3, 0xa5417ca4, v3
	v_fma_f32 v2, v1, v3, -v2
	;; [unrolled: 2-line block ×22, first 2 shown]
	v_add_f32_e32 v1, 0x401c2ded, v1
	v_sub_f32_e32 v1, v1, v2
	v_mul_f32_e32 v1, 0.5, v1
	v_div_scale_f32 v2, s[0:1], v5, v5, v1
	v_div_scale_f32 v3, vcc, v1, v5, v1
	v_rcp_f32_e32 v6, v2
	v_fma_f32 v7, -v2, v6, 1.0
	v_fmac_f32_e32 v6, v7, v6
	v_mul_f32_e32 v7, v3, v6
	v_fma_f32 v8, -v2, v7, v3
	v_fmac_f32_e32 v7, v8, v6
	v_fma_f32 v2, -v2, v7, v3
	v_div_fmas_f32 v2, v2, v6, v7
	v_div_fixup_f32 v2, v2, v5, v1
.LBB17_144:
	s_or_b64 exec, exec, s[6:7]
.LBB17_145:
	s_or_b64 exec, exec, s[4:5]
.LBB17_146:
	s_or_b64 exec, exec, s[2:3]
	v_add_u32_e32 v4, 0x80, v4
	global_store_dword v0, v2, s[16:17]
	s_or_b64 exec, exec, s[48:49]
	v_cmp_gt_i32_e32 vcc, s55, v4
	s_and_saveexec_b64 s[48:49], vcc
	s_cbranch_execnz .LBB17_124
.LBB17_147:
	s_or_b64 exec, exec, s[48:49]
	v_cmp_gt_i32_e32 vcc, s55, v4
	s_and_saveexec_b64 s[48:49], vcc
	s_cbranch_execnz .LBB17_166
.LBB17_148:
	s_or_b64 exec, exec, s[48:49]
                                        ; implicit-def: $vgpr13
                                        ; implicit-def: $vgpr4
	s_andn2_saveexec_b64 s[0:1], s[38:39]
	s_cbranch_execnz .LBB17_8
.LBB17_149:
	s_endpgm
.LBB17_150:
	s_mov_b32 s57, 0
	v_mov_b32_e32 v0, 0
	v_mov_b32_e32 v2, 0
	;; [unrolled: 1-line block ×3, first 2 shown]
.LBB17_151:
	s_and_b32 s4, s58, 3
	s_cmp_eq_u32 s4, 0
	s_cbranch_scc1 .LBB17_154
; %bb.152:
	s_lshl_b32 s0, s57, 3
	s_add_u32 s0, s34, s0
	s_addc_u32 s1, s35, 0
	s_add_u32 s0, s0, 0xc4
	s_addc_u32 s1, s1, 0
	s_mul_i32 s2, s57, 12
	s_add_u32 s2, s34, s2
	s_addc_u32 s3, s35, 0
.LBB17_153:                             ; =>This Inner Loop Header: Depth=1
	s_load_dwordx2 s[6:7], s[2:3], 0x4
	s_load_dword s5, s[2:3], 0xc
	s_load_dwordx2 s[8:9], s[0:1], 0x0
	s_add_u32 s2, s2, 12
	s_addc_u32 s3, s3, 0
	s_waitcnt lgkmcnt(0)
	v_mul_hi_u32 v3, s7, v1
	s_add_u32 s0, s0, 8
	s_addc_u32 s1, s1, 0
	s_add_i32 s4, s4, -1
	v_add_u32_e32 v3, v1, v3
	v_lshrrev_b32_e32 v5, s5, v3
	v_mul_lo_u32 v3, v5, s6
	s_cmp_lg_u32 s4, 0
	v_sub_u32_e32 v3, v1, v3
	v_mad_u64_u32 v[0:1], s[6:7], v3, s8, v[0:1]
	v_mad_u64_u32 v[2:3], s[6:7], v3, s9, v[2:3]
	v_mov_b32_e32 v1, v5
	s_cbranch_scc1 .LBB17_153
.LBB17_154:
	s_cbranch_execnz .LBB17_157
.LBB17_155:
	s_waitcnt lgkmcnt(0)
	v_mul_hi_u32 v0, s25, v4
	s_andn2_b64 vcc, exec, s[42:43]
	v_add_u32_e32 v0, v4, v0
	v_lshrrev_b32_e32 v1, s26, v0
	v_mul_lo_u32 v0, v1, s24
	v_sub_u32_e32 v2, v4, v0
	v_mul_lo_u32 v0, v2, s20
	v_mul_lo_u32 v2, v2, s21
	s_cbranch_vccnz .LBB17_157
; %bb.156:
	v_mul_hi_u32 v3, s40, v1
	v_add_u32_e32 v3, v1, v3
	v_lshrrev_b32_e32 v3, s41, v3
	v_mul_lo_u32 v3, v3, s27
	v_sub_u32_e32 v3, v1, v3
	v_mad_u64_u32 v[0:1], s[0:1], v3, s22, v[0:1]
	v_mad_u64_u32 v[2:3], s[0:1], v3, s23, v[2:3]
.LBB17_157:
	s_waitcnt lgkmcnt(0)
	global_load_dword v1, v2, s[18:19]
	v_mov_b32_e32 v2, 0x7f800000
	s_waitcnt vmcnt(0)
	v_cmp_neq_f32_e32 vcc, 0, v1
	s_and_saveexec_b64 s[2:3], vcc
	s_cbranch_execz .LBB17_165
; %bb.158:
	v_cmp_ngt_f32_e32 vcc, 0, v1
	v_mov_b32_e32 v2, 0x7fc00000
	s_and_saveexec_b64 s[4:5], vcc
	s_cbranch_execz .LBB17_164
; %bb.159:
	v_cmp_ge_f32_e32 vcc, 2.0, v1
                                        ; implicit-def: $vgpr2
	s_and_saveexec_b64 s[0:1], vcc
	s_xor_b64 s[6:7], exec, s[0:1]
	s_cbranch_execz .LBB17_161
; %bb.160:
	v_fma_f32 v2, v1, v1, -2.0
	v_mov_b32_e32 v3, 0x293fd856
	v_fmac_f32_e32 v3, 0x251e770f, v2
	v_mov_b32_e32 v5, 0xa51e770f
	v_fmac_f32_e32 v5, v2, v3
	v_add_f32_e32 v5, 0x2d3612e2, v5
	v_fma_f32 v3, v2, v5, -v3
	v_add_f32_e32 v3, 0x3102e09b, v3
	v_fma_f32 v5, v2, v3, -v5
	;; [unrolled: 2-line block ×7, first 2 shown]
	v_mul_f32_e32 v5, 0.5, v1
	s_mov_b32 s0, 0x800000
	v_cmp_gt_f32_e32 vcc, s0, v5
	v_cndmask_b32_e64 v6, 0, 32, vcc
	v_ldexp_f32 v5, v5, v6
	v_log_f32_e32 v5, v5
	v_add_f32_e32 v2, 0xbf090b37, v2
	v_sub_f32_e32 v2, v2, v3
	s_mov_b32 s0, 0x3f317217
	v_mul_f32_e32 v3, 0x3f317217, v5
	v_fma_f32 v3, v5, s0, -v3
	v_fmac_f32_e32 v3, 0x3377d1cf, v5
	s_mov_b32 s0, 0x7f800000
	v_fmac_f32_e32 v3, 0x3f317217, v5
	v_cmp_lt_f32_e64 s[0:1], |v5|, s0
	v_cndmask_b32_e64 v3, v5, v3, s[0:1]
	v_mul_f32_e32 v5, 0x3fb8aa3b, v1
	s_mov_b32 s0, 0x3fb8aa3b
	v_rndne_f32_e32 v6, v5
	v_sub_f32_e32 v7, v5, v6
	v_fma_f32 v5, v1, s0, -v5
	v_fmac_f32_e32 v5, 0x32a5705f, v1
	v_add_f32_e32 v5, v7, v5
	v_exp_f32_e32 v5, v5
	v_cvt_i32_f32_e32 v6, v6
	v_mov_b32_e32 v7, 0x41b17218
	s_mov_b32 s0, 0xc2ce8ed0
	v_cndmask_b32_e32 v7, 0, v7, vcc
	v_ldexp_f32 v5, v5, v6
	v_cmp_ngt_f32_e32 vcc, s0, v1
	s_mov_b32 s0, 0x42b17218
	v_cndmask_b32_e32 v5, 0, v5, vcc
	v_mov_b32_e32 v6, 0x7f800000
	v_cmp_nlt_f32_e32 vcc, s0, v1
	v_cndmask_b32_e32 v5, v6, v5, vcc
	v_fma_f32 v1, v1, 0.5, -2.0
	v_mov_b32_e32 v6, 0x24199b15
	v_sub_f32_e32 v3, v3, v7
	v_fmac_f32_e32 v6, 0xa2a2e5b9, v1
	v_mov_b32_e32 v7, 0x22a2e5b9
	v_fmac_f32_e32 v7, v1, v6
	v_add_f32_e32 v7, 0xa58c275c, v7
	v_fma_f32 v6, v1, v7, -v6
	v_add_f32_e32 v6, 0x26f736c5, v6
	v_fma_f32 v7, v1, v6, -v7
	;; [unrolled: 2-line block ×27, first 2 shown]
	v_add_f32_e32 v1, 0x3f2d4275, v1
	v_sub_f32_e32 v1, v1, v6
	v_mul_f32_e32 v1, 0.5, v1
	v_mul_f32_e32 v1, v5, v1
	v_mul_f32_e32 v1, v3, v1
	v_fma_f32 v1, v2, 0.5, -v1
	v_mul_f32_e32 v2, v5, v1
                                        ; implicit-def: $vgpr1
.LBB17_161:
	s_andn2_saveexec_b64 s[6:7], s[6:7]
	s_cbranch_execz .LBB17_163
; %bb.162:
	s_mov_b32 s8, 0x41000000
	v_div_scale_f32 v2, s[0:1], v1, v1, s8
	v_div_scale_f32 v3, vcc, s8, v1, s8
	s_mov_b32 s0, 0xf800000
	v_mul_f32_e32 v5, 0x4f800000, v1
	v_cmp_gt_f32_e64 s[0:1], s0, v1
	v_cndmask_b32_e64 v5, v1, v5, s[0:1]
	v_sqrt_f32_e32 v7, v5
	v_add_u32_e32 v10, 1, v7
	v_fma_f32 v12, -v10, v7, v5
	v_rcp_f32_e32 v6, v2
	v_fma_f32 v8, -v2, v6, 1.0
	v_fmac_f32_e32 v6, v8, v6
	v_mul_f32_e32 v8, v3, v6
	v_fma_f32 v9, -v2, v8, v3
	v_fmac_f32_e32 v8, v9, v6
	v_fma_f32 v2, -v2, v8, v3
	v_div_fmas_f32 v2, v2, v6, v8
	v_mov_b32_e32 v3, 0xa397f665
	v_mov_b32_e32 v6, 0xa2c38d2e
	v_add_u32_e32 v9, -1, v7
	v_fma_f32 v11, -v9, v7, v5
	v_cmp_ge_f32_e32 vcc, 0, v11
	v_cndmask_b32_e32 v7, v7, v9, vcc
	v_cmp_lt_f32_e32 vcc, 0, v12
	v_cndmask_b32_e32 v7, v7, v10, vcc
	v_mov_b32_e32 v8, 0x260
	v_mul_f32_e32 v9, 0x37800000, v7
	v_cndmask_b32_e64 v7, v7, v9, s[0:1]
	v_cmp_class_f32_e32 vcc, v5, v8
	v_cndmask_b32_e32 v5, v7, v5, vcc
	v_div_fixup_f32 v1, v2, v1, s8
	v_add_f32_e32 v1, -2.0, v1
	v_fmac_f32_e32 v3, 0x22c38d2e, v1
	v_fmac_f32_e32 v6, v1, v3
	v_add_f32_e32 v2, 0x24704972, v6
	v_fma_f32 v3, v1, v2, -v3
	v_add_f32_e32 v3, 0xa5417ca4, v3
	v_fma_f32 v2, v1, v3, -v2
	;; [unrolled: 2-line block ×22, first 2 shown]
	v_add_f32_e32 v1, 0x401c2ded, v1
	v_sub_f32_e32 v1, v1, v2
	v_mul_f32_e32 v1, 0.5, v1
	v_div_scale_f32 v2, s[0:1], v5, v5, v1
	v_div_scale_f32 v3, vcc, v1, v5, v1
	v_rcp_f32_e32 v6, v2
	v_fma_f32 v7, -v2, v6, 1.0
	v_fmac_f32_e32 v6, v7, v6
	v_mul_f32_e32 v7, v3, v6
	v_fma_f32 v8, -v2, v7, v3
	v_fmac_f32_e32 v7, v8, v6
	v_fma_f32 v2, -v2, v7, v3
	v_div_fmas_f32 v2, v2, v6, v7
	v_div_fixup_f32 v2, v2, v5, v1
.LBB17_163:
	s_or_b64 exec, exec, s[6:7]
.LBB17_164:
	s_or_b64 exec, exec, s[4:5]
.LBB17_165:
	s_or_b64 exec, exec, s[2:3]
	v_add_u32_e32 v4, 0x80, v4
	global_store_dword v0, v2, s[16:17]
	s_or_b64 exec, exec, s[48:49]
	v_cmp_gt_i32_e32 vcc, s55, v4
	s_and_saveexec_b64 s[48:49], vcc
	s_cbranch_execz .LBB17_148
.LBB17_166:
	s_andn2_b64 vcc, exec, s[36:37]
	s_cbranch_vccnz .LBB17_171
; %bb.167:
	s_andn2_b64 vcc, exec, s[46:47]
	s_cbranch_vccnz .LBB17_172
; %bb.168:
	s_add_i32 s56, s56, 1
	s_cmp_eq_u32 s54, 2
	s_cbranch_scc1 .LBB17_173
; %bb.169:
	s_and_b32 s50, s56, 28
	v_mov_b32_e32 v2, 0
	s_mov_b32 s51, 0
	s_mov_b64 s[46:47], s[34:35]
	v_mov_b32_e32 v0, 0
	v_mov_b32_e32 v1, v4
.LBB17_170:                             ; =>This Inner Loop Header: Depth=1
	s_load_dwordx8 s[8:15], s[46:47], 0x4
	s_load_dwordx4 s[28:31], s[46:47], 0x24
	s_load_dwordx8 s[0:7], s[44:45], 0x0
	s_add_u32 s46, s46, 48
	s_addc_u32 s47, s47, 0
	s_waitcnt lgkmcnt(0)
	v_mul_hi_u32 v3, s9, v1
	s_add_i32 s51, s51, 4
	s_add_u32 s44, s44, 32
	s_addc_u32 s45, s45, 0
	v_add_u32_e32 v3, v1, v3
	v_lshrrev_b32_e32 v3, s10, v3
	v_mul_lo_u32 v5, v3, s8
	v_mul_hi_u32 v6, s12, v3
	s_cmp_eq_u32 s50, s51
	v_sub_u32_e32 v1, v1, v5
	v_add_u32_e32 v5, v3, v6
	v_mul_lo_u32 v6, v1, s0
	v_mul_lo_u32 v7, v1, s1
	v_lshrrev_b32_e32 v1, s13, v5
	v_mul_lo_u32 v5, v1, s11
	v_mul_hi_u32 v8, s15, v1
	v_sub_u32_e32 v3, v3, v5
	v_add_u32_e32 v5, v1, v8
	v_lshrrev_b32_e32 v5, s28, v5
	v_mul_hi_u32 v9, s30, v5
	v_mul_lo_u32 v10, v5, s14
	v_mul_lo_u32 v8, v3, s2
	v_mul_lo_u32 v3, v3, s3
	v_sub_u32_e32 v10, v1, v10
	v_add_u32_e32 v1, v5, v9
	v_lshrrev_b32_e32 v1, s31, v1
	v_mul_lo_u32 v9, v1, s29
	v_mul_lo_u32 v11, v10, s4
	;; [unrolled: 1-line block ×3, first 2 shown]
	v_add3_u32 v0, v6, v0, v8
	v_sub_u32_e32 v5, v5, v9
	v_mul_lo_u32 v9, v5, s6
	v_mul_lo_u32 v5, v5, s7
	v_add3_u32 v2, v7, v2, v3
	v_add3_u32 v0, v11, v0, v9
	;; [unrolled: 1-line block ×3, first 2 shown]
	s_cbranch_scc0 .LBB17_170
	s_branch .LBB17_174
.LBB17_171:
                                        ; implicit-def: $vgpr0
                                        ; implicit-def: $vgpr2
	s_branch .LBB17_178
.LBB17_172:
	v_mov_b32_e32 v0, 0
	v_mov_b32_e32 v2, 0
	s_branch .LBB17_177
.LBB17_173:
	s_mov_b32 s50, 0
	v_mov_b32_e32 v0, 0
	v_mov_b32_e32 v2, 0
	;; [unrolled: 1-line block ×3, first 2 shown]
.LBB17_174:
	s_and_b32 s4, s56, 3
	s_cmp_eq_u32 s4, 0
	s_cbranch_scc1 .LBB17_177
; %bb.175:
	s_lshl_b32 s0, s50, 3
	s_add_u32 s0, s34, s0
	s_addc_u32 s1, s35, 0
	s_add_u32 s0, s0, 0xc4
	s_addc_u32 s1, s1, 0
	s_mul_i32 s2, s50, 12
	s_add_u32 s2, s34, s2
	s_addc_u32 s3, s35, 0
.LBB17_176:                             ; =>This Inner Loop Header: Depth=1
	s_load_dwordx2 s[6:7], s[2:3], 0x4
	s_load_dword s5, s[2:3], 0xc
	s_load_dwordx2 s[8:9], s[0:1], 0x0
	s_add_u32 s2, s2, 12
	s_addc_u32 s3, s3, 0
	s_waitcnt lgkmcnt(0)
	v_mul_hi_u32 v3, s7, v1
	s_add_u32 s0, s0, 8
	s_addc_u32 s1, s1, 0
	s_add_i32 s4, s4, -1
	v_add_u32_e32 v3, v1, v3
	v_lshrrev_b32_e32 v5, s5, v3
	v_mul_lo_u32 v3, v5, s6
	s_cmp_lg_u32 s4, 0
	v_sub_u32_e32 v3, v1, v3
	v_mad_u64_u32 v[0:1], s[6:7], v3, s8, v[0:1]
	v_mad_u64_u32 v[2:3], s[6:7], v3, s9, v[2:3]
	v_mov_b32_e32 v1, v5
	s_cbranch_scc1 .LBB17_176
.LBB17_177:
	s_cbranch_execnz .LBB17_180
.LBB17_178:
	s_waitcnt lgkmcnt(0)
	v_mul_hi_u32 v0, s25, v4
	s_andn2_b64 vcc, exec, s[42:43]
	v_add_u32_e32 v0, v4, v0
	v_lshrrev_b32_e32 v1, s26, v0
	v_mul_lo_u32 v0, v1, s24
	v_sub_u32_e32 v2, v4, v0
	v_mul_lo_u32 v0, v2, s20
	v_mul_lo_u32 v2, v2, s21
	s_cbranch_vccnz .LBB17_180
; %bb.179:
	v_mul_hi_u32 v3, s40, v1
	v_add_u32_e32 v3, v1, v3
	v_lshrrev_b32_e32 v3, s41, v3
	v_mul_lo_u32 v3, v3, s27
	v_sub_u32_e32 v3, v1, v3
	v_mad_u64_u32 v[0:1], s[0:1], v3, s22, v[0:1]
	v_mad_u64_u32 v[2:3], s[0:1], v3, s23, v[2:3]
.LBB17_180:
	s_waitcnt lgkmcnt(0)
	global_load_dword v1, v2, s[18:19]
	v_mov_b32_e32 v2, 0x7f800000
	s_waitcnt vmcnt(0)
	v_cmp_neq_f32_e32 vcc, 0, v1
	s_and_saveexec_b64 s[2:3], vcc
	s_cbranch_execz .LBB17_188
; %bb.181:
	v_cmp_ngt_f32_e32 vcc, 0, v1
	v_mov_b32_e32 v2, 0x7fc00000
	s_and_saveexec_b64 s[4:5], vcc
	s_cbranch_execz .LBB17_187
; %bb.182:
	v_cmp_ge_f32_e32 vcc, 2.0, v1
                                        ; implicit-def: $vgpr2
	s_and_saveexec_b64 s[0:1], vcc
	s_xor_b64 s[6:7], exec, s[0:1]
	s_cbranch_execz .LBB17_184
; %bb.183:
	v_fma_f32 v2, v1, v1, -2.0
	v_mov_b32_e32 v3, 0x293fd856
	v_fmac_f32_e32 v3, 0x251e770f, v2
	v_mov_b32_e32 v4, 0xa51e770f
	v_fmac_f32_e32 v4, v2, v3
	v_add_f32_e32 v4, 0x2d3612e2, v4
	v_fma_f32 v3, v2, v4, -v3
	v_add_f32_e32 v3, 0x3102e09b, v3
	v_fma_f32 v4, v2, v3, -v4
	;; [unrolled: 2-line block ×7, first 2 shown]
	v_mul_f32_e32 v4, 0.5, v1
	s_mov_b32 s0, 0x800000
	v_cmp_gt_f32_e32 vcc, s0, v4
	v_cndmask_b32_e64 v5, 0, 32, vcc
	v_ldexp_f32 v4, v4, v5
	v_log_f32_e32 v4, v4
	v_add_f32_e32 v2, 0xbf090b37, v2
	v_sub_f32_e32 v2, v2, v3
	s_mov_b32 s0, 0x3f317217
	v_mul_f32_e32 v3, 0x3f317217, v4
	v_fma_f32 v3, v4, s0, -v3
	v_fmac_f32_e32 v3, 0x3377d1cf, v4
	s_mov_b32 s0, 0x7f800000
	v_fmac_f32_e32 v3, 0x3f317217, v4
	v_cmp_lt_f32_e64 s[0:1], |v4|, s0
	v_cndmask_b32_e64 v3, v4, v3, s[0:1]
	v_mul_f32_e32 v4, 0x3fb8aa3b, v1
	s_mov_b32 s0, 0x3fb8aa3b
	v_rndne_f32_e32 v5, v4
	v_sub_f32_e32 v6, v4, v5
	v_fma_f32 v4, v1, s0, -v4
	v_fmac_f32_e32 v4, 0x32a5705f, v1
	v_add_f32_e32 v4, v6, v4
	v_exp_f32_e32 v4, v4
	v_cvt_i32_f32_e32 v5, v5
	v_mov_b32_e32 v6, 0x41b17218
	s_mov_b32 s0, 0xc2ce8ed0
	v_cndmask_b32_e32 v6, 0, v6, vcc
	v_ldexp_f32 v4, v4, v5
	v_cmp_ngt_f32_e32 vcc, s0, v1
	s_mov_b32 s0, 0x42b17218
	v_cndmask_b32_e32 v4, 0, v4, vcc
	v_mov_b32_e32 v5, 0x7f800000
	v_cmp_nlt_f32_e32 vcc, s0, v1
	v_cndmask_b32_e32 v4, v5, v4, vcc
	v_fma_f32 v1, v1, 0.5, -2.0
	v_mov_b32_e32 v5, 0x24199b15
	v_sub_f32_e32 v3, v3, v6
	v_fmac_f32_e32 v5, 0xa2a2e5b9, v1
	v_mov_b32_e32 v6, 0x22a2e5b9
	v_fmac_f32_e32 v6, v1, v5
	v_add_f32_e32 v6, 0xa58c275c, v6
	v_fma_f32 v5, v1, v6, -v5
	v_add_f32_e32 v5, 0x26f736c5, v5
	v_fma_f32 v6, v1, v5, -v6
	;; [unrolled: 2-line block ×27, first 2 shown]
	v_add_f32_e32 v1, 0x3f2d4275, v1
	v_sub_f32_e32 v1, v1, v5
	v_mul_f32_e32 v1, 0.5, v1
	v_mul_f32_e32 v1, v4, v1
	v_mul_f32_e32 v1, v3, v1
	v_fma_f32 v1, v2, 0.5, -v1
	v_mul_f32_e32 v2, v4, v1
                                        ; implicit-def: $vgpr1
.LBB17_184:
	s_andn2_saveexec_b64 s[6:7], s[6:7]
	s_cbranch_execz .LBB17_186
; %bb.185:
	s_mov_b32 s8, 0x41000000
	v_div_scale_f32 v2, s[0:1], v1, v1, s8
	v_div_scale_f32 v3, vcc, s8, v1, s8
	s_mov_b32 s0, 0xf800000
	v_mul_f32_e32 v4, 0x4f800000, v1
	v_cmp_gt_f32_e64 s[0:1], s0, v1
	v_cndmask_b32_e64 v4, v1, v4, s[0:1]
	v_sqrt_f32_e32 v6, v4
	v_add_u32_e32 v9, 1, v6
	v_fma_f32 v11, -v9, v6, v4
	v_rcp_f32_e32 v5, v2
	v_fma_f32 v7, -v2, v5, 1.0
	v_fmac_f32_e32 v5, v7, v5
	v_mul_f32_e32 v7, v3, v5
	v_fma_f32 v8, -v2, v7, v3
	v_fmac_f32_e32 v7, v8, v5
	v_fma_f32 v2, -v2, v7, v3
	v_div_fmas_f32 v2, v2, v5, v7
	v_mov_b32_e32 v3, 0xa397f665
	v_mov_b32_e32 v5, 0xa2c38d2e
	v_add_u32_e32 v8, -1, v6
	v_fma_f32 v10, -v8, v6, v4
	v_cmp_ge_f32_e32 vcc, 0, v10
	v_cndmask_b32_e32 v6, v6, v8, vcc
	v_cmp_lt_f32_e32 vcc, 0, v11
	v_cndmask_b32_e32 v6, v6, v9, vcc
	v_mov_b32_e32 v7, 0x260
	v_mul_f32_e32 v8, 0x37800000, v6
	v_cndmask_b32_e64 v6, v6, v8, s[0:1]
	v_cmp_class_f32_e32 vcc, v4, v7
	v_cndmask_b32_e32 v4, v6, v4, vcc
	v_div_fixup_f32 v1, v2, v1, s8
	v_add_f32_e32 v1, -2.0, v1
	v_fmac_f32_e32 v3, 0x22c38d2e, v1
	v_fmac_f32_e32 v5, v1, v3
	v_add_f32_e32 v2, 0x24704972, v5
	v_fma_f32 v3, v1, v2, -v3
	v_add_f32_e32 v3, 0xa5417ca4, v3
	v_fma_f32 v2, v1, v3, -v2
	;; [unrolled: 2-line block ×22, first 2 shown]
	v_add_f32_e32 v1, 0x401c2ded, v1
	v_sub_f32_e32 v1, v1, v2
	v_mul_f32_e32 v1, 0.5, v1
	v_div_scale_f32 v2, s[0:1], v4, v4, v1
	v_div_scale_f32 v3, vcc, v1, v4, v1
	v_rcp_f32_e32 v5, v2
	v_fma_f32 v6, -v2, v5, 1.0
	v_fmac_f32_e32 v5, v6, v5
	v_mul_f32_e32 v6, v3, v5
	v_fma_f32 v7, -v2, v6, v3
	v_fmac_f32_e32 v6, v7, v5
	v_fma_f32 v2, -v2, v6, v3
	v_div_fmas_f32 v2, v2, v5, v6
	v_div_fixup_f32 v2, v2, v4, v1
.LBB17_186:
	s_or_b64 exec, exec, s[6:7]
.LBB17_187:
	s_or_b64 exec, exec, s[4:5]
.LBB17_188:
	s_or_b64 exec, exec, s[2:3]
	global_store_dword v0, v2, s[16:17]
	s_or_b64 exec, exec, s[48:49]
                                        ; implicit-def: $vgpr13
                                        ; implicit-def: $vgpr4
	s_andn2_saveexec_b64 s[0:1], s[38:39]
	s_cbranch_execz .LBB17_149
	s_branch .LBB17_8
	.section	.rodata,"a",@progbits
	.p2align	6, 0x0
	.amdhsa_kernel _ZN2at6native32elementwise_kernel_manual_unrollILi128ELi4EZNS0_22gpu_kernel_impl_nocastIZZZNS0_12_GLOBAL__N_137scaled_modified_bessel_k0_kernel_cudaERNS_18TensorIteratorBaseEENKUlvE_clEvENKUlvE0_clEvEUlfE_EEvS5_RKT_EUlibE_EEviT1_
		.amdhsa_group_segment_fixed_size 0
		.amdhsa_private_segment_fixed_size 0
		.amdhsa_kernarg_size 360
		.amdhsa_user_sgpr_count 6
		.amdhsa_user_sgpr_private_segment_buffer 1
		.amdhsa_user_sgpr_dispatch_ptr 0
		.amdhsa_user_sgpr_queue_ptr 0
		.amdhsa_user_sgpr_kernarg_segment_ptr 1
		.amdhsa_user_sgpr_dispatch_id 0
		.amdhsa_user_sgpr_flat_scratch_init 0
		.amdhsa_user_sgpr_private_segment_size 0
		.amdhsa_uses_dynamic_stack 0
		.amdhsa_system_sgpr_private_segment_wavefront_offset 0
		.amdhsa_system_sgpr_workgroup_id_x 1
		.amdhsa_system_sgpr_workgroup_id_y 0
		.amdhsa_system_sgpr_workgroup_id_z 0
		.amdhsa_system_sgpr_workgroup_info 0
		.amdhsa_system_vgpr_workitem_id 0
		.amdhsa_next_free_vgpr 19
		.amdhsa_next_free_sgpr 60
		.amdhsa_reserve_vcc 1
		.amdhsa_reserve_flat_scratch 0
		.amdhsa_float_round_mode_32 0
		.amdhsa_float_round_mode_16_64 0
		.amdhsa_float_denorm_mode_32 3
		.amdhsa_float_denorm_mode_16_64 3
		.amdhsa_dx10_clamp 1
		.amdhsa_ieee_mode 1
		.amdhsa_fp16_overflow 0
		.amdhsa_exception_fp_ieee_invalid_op 0
		.amdhsa_exception_fp_denorm_src 0
		.amdhsa_exception_fp_ieee_div_zero 0
		.amdhsa_exception_fp_ieee_overflow 0
		.amdhsa_exception_fp_ieee_underflow 0
		.amdhsa_exception_fp_ieee_inexact 0
		.amdhsa_exception_int_div_zero 0
	.end_amdhsa_kernel
	.section	.text._ZN2at6native32elementwise_kernel_manual_unrollILi128ELi4EZNS0_22gpu_kernel_impl_nocastIZZZNS0_12_GLOBAL__N_137scaled_modified_bessel_k0_kernel_cudaERNS_18TensorIteratorBaseEENKUlvE_clEvENKUlvE0_clEvEUlfE_EEvS5_RKT_EUlibE_EEviT1_,"axG",@progbits,_ZN2at6native32elementwise_kernel_manual_unrollILi128ELi4EZNS0_22gpu_kernel_impl_nocastIZZZNS0_12_GLOBAL__N_137scaled_modified_bessel_k0_kernel_cudaERNS_18TensorIteratorBaseEENKUlvE_clEvENKUlvE0_clEvEUlfE_EEvS5_RKT_EUlibE_EEviT1_,comdat
.Lfunc_end17:
	.size	_ZN2at6native32elementwise_kernel_manual_unrollILi128ELi4EZNS0_22gpu_kernel_impl_nocastIZZZNS0_12_GLOBAL__N_137scaled_modified_bessel_k0_kernel_cudaERNS_18TensorIteratorBaseEENKUlvE_clEvENKUlvE0_clEvEUlfE_EEvS5_RKT_EUlibE_EEviT1_, .Lfunc_end17-_ZN2at6native32elementwise_kernel_manual_unrollILi128ELi4EZNS0_22gpu_kernel_impl_nocastIZZZNS0_12_GLOBAL__N_137scaled_modified_bessel_k0_kernel_cudaERNS_18TensorIteratorBaseEENKUlvE_clEvENKUlvE0_clEvEUlfE_EEvS5_RKT_EUlibE_EEviT1_
                                        ; -- End function
	.set _ZN2at6native32elementwise_kernel_manual_unrollILi128ELi4EZNS0_22gpu_kernel_impl_nocastIZZZNS0_12_GLOBAL__N_137scaled_modified_bessel_k0_kernel_cudaERNS_18TensorIteratorBaseEENKUlvE_clEvENKUlvE0_clEvEUlfE_EEvS5_RKT_EUlibE_EEviT1_.num_vgpr, 19
	.set _ZN2at6native32elementwise_kernel_manual_unrollILi128ELi4EZNS0_22gpu_kernel_impl_nocastIZZZNS0_12_GLOBAL__N_137scaled_modified_bessel_k0_kernel_cudaERNS_18TensorIteratorBaseEENKUlvE_clEvENKUlvE0_clEvEUlfE_EEvS5_RKT_EUlibE_EEviT1_.num_agpr, 0
	.set _ZN2at6native32elementwise_kernel_manual_unrollILi128ELi4EZNS0_22gpu_kernel_impl_nocastIZZZNS0_12_GLOBAL__N_137scaled_modified_bessel_k0_kernel_cudaERNS_18TensorIteratorBaseEENKUlvE_clEvENKUlvE0_clEvEUlfE_EEvS5_RKT_EUlibE_EEviT1_.numbered_sgpr, 60
	.set _ZN2at6native32elementwise_kernel_manual_unrollILi128ELi4EZNS0_22gpu_kernel_impl_nocastIZZZNS0_12_GLOBAL__N_137scaled_modified_bessel_k0_kernel_cudaERNS_18TensorIteratorBaseEENKUlvE_clEvENKUlvE0_clEvEUlfE_EEvS5_RKT_EUlibE_EEviT1_.num_named_barrier, 0
	.set _ZN2at6native32elementwise_kernel_manual_unrollILi128ELi4EZNS0_22gpu_kernel_impl_nocastIZZZNS0_12_GLOBAL__N_137scaled_modified_bessel_k0_kernel_cudaERNS_18TensorIteratorBaseEENKUlvE_clEvENKUlvE0_clEvEUlfE_EEvS5_RKT_EUlibE_EEviT1_.private_seg_size, 0
	.set _ZN2at6native32elementwise_kernel_manual_unrollILi128ELi4EZNS0_22gpu_kernel_impl_nocastIZZZNS0_12_GLOBAL__N_137scaled_modified_bessel_k0_kernel_cudaERNS_18TensorIteratorBaseEENKUlvE_clEvENKUlvE0_clEvEUlfE_EEvS5_RKT_EUlibE_EEviT1_.uses_vcc, 1
	.set _ZN2at6native32elementwise_kernel_manual_unrollILi128ELi4EZNS0_22gpu_kernel_impl_nocastIZZZNS0_12_GLOBAL__N_137scaled_modified_bessel_k0_kernel_cudaERNS_18TensorIteratorBaseEENKUlvE_clEvENKUlvE0_clEvEUlfE_EEvS5_RKT_EUlibE_EEviT1_.uses_flat_scratch, 0
	.set _ZN2at6native32elementwise_kernel_manual_unrollILi128ELi4EZNS0_22gpu_kernel_impl_nocastIZZZNS0_12_GLOBAL__N_137scaled_modified_bessel_k0_kernel_cudaERNS_18TensorIteratorBaseEENKUlvE_clEvENKUlvE0_clEvEUlfE_EEvS5_RKT_EUlibE_EEviT1_.has_dyn_sized_stack, 0
	.set _ZN2at6native32elementwise_kernel_manual_unrollILi128ELi4EZNS0_22gpu_kernel_impl_nocastIZZZNS0_12_GLOBAL__N_137scaled_modified_bessel_k0_kernel_cudaERNS_18TensorIteratorBaseEENKUlvE_clEvENKUlvE0_clEvEUlfE_EEvS5_RKT_EUlibE_EEviT1_.has_recursion, 0
	.set _ZN2at6native32elementwise_kernel_manual_unrollILi128ELi4EZNS0_22gpu_kernel_impl_nocastIZZZNS0_12_GLOBAL__N_137scaled_modified_bessel_k0_kernel_cudaERNS_18TensorIteratorBaseEENKUlvE_clEvENKUlvE0_clEvEUlfE_EEvS5_RKT_EUlibE_EEviT1_.has_indirect_call, 0
	.section	.AMDGPU.csdata,"",@progbits
; Kernel info:
; codeLenInByte = 18608
; TotalNumSgprs: 64
; NumVgprs: 19
; ScratchSize: 0
; MemoryBound: 0
; FloatMode: 240
; IeeeMode: 1
; LDSByteSize: 0 bytes/workgroup (compile time only)
; SGPRBlocks: 7
; VGPRBlocks: 4
; NumSGPRsForWavesPerEU: 64
; NumVGPRsForWavesPerEU: 19
; Occupancy: 10
; WaveLimiterHint : 1
; COMPUTE_PGM_RSRC2:SCRATCH_EN: 0
; COMPUTE_PGM_RSRC2:USER_SGPR: 6
; COMPUTE_PGM_RSRC2:TRAP_HANDLER: 0
; COMPUTE_PGM_RSRC2:TGID_X_EN: 1
; COMPUTE_PGM_RSRC2:TGID_Y_EN: 0
; COMPUTE_PGM_RSRC2:TGID_Z_EN: 0
; COMPUTE_PGM_RSRC2:TIDIG_COMP_CNT: 0
	.section	.text._ZN2at6native32elementwise_kernel_manual_unrollILi128ELi4EZNS0_15gpu_kernel_implIZZZNS0_12_GLOBAL__N_137scaled_modified_bessel_k0_kernel_cudaERNS_18TensorIteratorBaseEENKUlvE_clEvENKUlvE0_clEvEUlfE_EEvS5_RKT_EUlibE_EEviT1_,"axG",@progbits,_ZN2at6native32elementwise_kernel_manual_unrollILi128ELi4EZNS0_15gpu_kernel_implIZZZNS0_12_GLOBAL__N_137scaled_modified_bessel_k0_kernel_cudaERNS_18TensorIteratorBaseEENKUlvE_clEvENKUlvE0_clEvEUlfE_EEvS5_RKT_EUlibE_EEviT1_,comdat
	.globl	_ZN2at6native32elementwise_kernel_manual_unrollILi128ELi4EZNS0_15gpu_kernel_implIZZZNS0_12_GLOBAL__N_137scaled_modified_bessel_k0_kernel_cudaERNS_18TensorIteratorBaseEENKUlvE_clEvENKUlvE0_clEvEUlfE_EEvS5_RKT_EUlibE_EEviT1_ ; -- Begin function _ZN2at6native32elementwise_kernel_manual_unrollILi128ELi4EZNS0_15gpu_kernel_implIZZZNS0_12_GLOBAL__N_137scaled_modified_bessel_k0_kernel_cudaERNS_18TensorIteratorBaseEENKUlvE_clEvENKUlvE0_clEvEUlfE_EEvS5_RKT_EUlibE_EEviT1_
	.p2align	8
	.type	_ZN2at6native32elementwise_kernel_manual_unrollILi128ELi4EZNS0_15gpu_kernel_implIZZZNS0_12_GLOBAL__N_137scaled_modified_bessel_k0_kernel_cudaERNS_18TensorIteratorBaseEENKUlvE_clEvENKUlvE0_clEvEUlfE_EEvS5_RKT_EUlibE_EEviT1_,@function
_ZN2at6native32elementwise_kernel_manual_unrollILi128ELi4EZNS0_15gpu_kernel_implIZZZNS0_12_GLOBAL__N_137scaled_modified_bessel_k0_kernel_cudaERNS_18TensorIteratorBaseEENKUlvE_clEvENKUlvE0_clEvEUlfE_EEvS5_RKT_EUlibE_EEviT1_: ; @_ZN2at6native32elementwise_kernel_manual_unrollILi128ELi4EZNS0_15gpu_kernel_implIZZZNS0_12_GLOBAL__N_137scaled_modified_bessel_k0_kernel_cudaERNS_18TensorIteratorBaseEENKUlvE_clEvENKUlvE0_clEvEUlfE_EEvS5_RKT_EUlibE_EEviT1_
; %bb.0:
	v_mov_b32_e32 v1, 0
	global_load_ushort v1, v1, s[4:5] offset:33
	s_load_dwordx4 s[8:11], s[4:5], 0x8
	s_load_dwordx2 s[2:3], s[4:5], 0x18
	s_load_dword s38, s[4:5], 0x0
	v_lshl_or_b32 v7, s6, 9, v0
	v_or_b32_e32 v0, 0x180, v7
	s_mov_b64 s[12:13], 0
	s_mov_b64 s[6:7], 0
	s_waitcnt lgkmcnt(0)
	v_cmp_le_i32_e32 vcc, s38, v0
	s_waitcnt vmcnt(0)
	v_readfirstlane_b32 s33, v1
	s_and_b32 s0, 0xffff, s33
	s_lshr_b32 s42, s0, 8
	s_and_saveexec_b64 s[0:1], vcc
	s_xor_b64 s[4:5], exec, s[0:1]
	s_cbranch_execz .LBB18_1059
; %bb.1:
	v_cmp_gt_i32_e32 vcc, s38, v7
	s_mov_b64 s[18:19], -1
	s_mov_b64 s[20:21], 0
	s_mov_b64 s[14:15], 0
	s_and_saveexec_b64 s[16:17], vcc
	s_cbranch_execz .LBB18_260
; %bb.2:
	v_mul_lo_u32 v0, v7, s3
	v_mov_b32_e32 v1, s11
	s_and_b32 s22, 0xffff, s42
	s_cmp_lt_i32 s22, 11
	v_ashrrev_i32_e32 v2, 31, v0
	v_add_co_u32_e32 v0, vcc, s10, v0
	v_addc_co_u32_e32 v1, vcc, v1, v2, vcc
	s_cbranch_scc1 .LBB18_9
; %bb.3:
	s_cmp_gt_i32 s22, 25
	s_cbranch_scc0 .LBB18_26
; %bb.4:
	s_cmp_gt_i32 s22, 28
	s_cbranch_scc0 .LBB18_30
	;; [unrolled: 3-line block ×4, first 2 shown]
; %bb.7:
	s_cmp_eq_u32 s22, 46
	s_cbranch_scc0 .LBB18_36
; %bb.8:
	global_load_dword v2, v[0:1], off
	s_mov_b64 s[0:1], -1
	s_waitcnt vmcnt(0)
	v_lshlrev_b32_e32 v2, 16, v2
	s_branch .LBB18_38
.LBB18_9:
                                        ; implicit-def: $vgpr2
	s_mov_b64 s[0:1], 0
	s_cbranch_execnz .LBB18_211
.LBB18_10:
	s_andn2_b64 vcc, exec, s[0:1]
	s_cbranch_vccnz .LBB18_258
.LBB18_11:
	s_waitcnt vmcnt(0)
	v_cmp_neq_f32_e32 vcc, 0, v2
	v_mov_b32_e32 v0, 0x7f800000
	s_and_saveexec_b64 s[6:7], vcc
	s_cbranch_execz .LBB18_19
; %bb.12:
	v_cmp_ngt_f32_e32 vcc, 0, v2
	v_mov_b32_e32 v0, 0x7fc00000
	s_and_saveexec_b64 s[18:19], vcc
	s_cbranch_execz .LBB18_18
; %bb.13:
	v_cmp_ge_f32_e32 vcc, 2.0, v2
                                        ; implicit-def: $vgpr0
	s_and_saveexec_b64 s[0:1], vcc
	s_xor_b64 s[22:23], exec, s[0:1]
	s_cbranch_execz .LBB18_15
; %bb.14:
	v_fma_f32 v0, v2, v2, -2.0
	v_mov_b32_e32 v1, 0x293fd856
	v_fmac_f32_e32 v1, 0x251e770f, v0
	v_mov_b32_e32 v3, 0xa51e770f
	v_fmac_f32_e32 v3, v0, v1
	v_add_f32_e32 v3, 0x2d3612e2, v3
	v_fma_f32 v1, v0, v3, -v1
	v_add_f32_e32 v1, 0x3102e09b, v1
	v_fma_f32 v3, v0, v1, -v3
	;; [unrolled: 2-line block ×7, first 2 shown]
	v_mul_f32_e32 v3, 0.5, v2
	s_mov_b32 s0, 0x800000
	v_cmp_gt_f32_e32 vcc, s0, v3
	v_cndmask_b32_e64 v4, 0, 32, vcc
	v_ldexp_f32 v3, v3, v4
	v_log_f32_e32 v3, v3
	v_add_f32_e32 v0, 0xbf090b37, v0
	v_sub_f32_e32 v0, v0, v1
	s_mov_b32 s0, 0x3f317217
	v_mul_f32_e32 v1, 0x3f317217, v3
	v_fma_f32 v1, v3, s0, -v1
	v_fmac_f32_e32 v1, 0x3377d1cf, v3
	s_mov_b32 s0, 0x7f800000
	v_fmac_f32_e32 v1, 0x3f317217, v3
	v_cmp_lt_f32_e64 s[0:1], |v3|, s0
	v_cndmask_b32_e64 v1, v3, v1, s[0:1]
	v_mul_f32_e32 v3, 0x3fb8aa3b, v2
	s_mov_b32 s0, 0x3fb8aa3b
	v_rndne_f32_e32 v4, v3
	v_sub_f32_e32 v5, v3, v4
	v_fma_f32 v3, v2, s0, -v3
	v_fmac_f32_e32 v3, 0x32a5705f, v2
	v_add_f32_e32 v3, v5, v3
	v_exp_f32_e32 v3, v3
	v_cvt_i32_f32_e32 v4, v4
	v_mov_b32_e32 v5, 0x41b17218
	s_mov_b32 s0, 0xc2ce8ed0
	v_cndmask_b32_e32 v5, 0, v5, vcc
	v_ldexp_f32 v3, v3, v4
	v_cmp_ngt_f32_e32 vcc, s0, v2
	s_mov_b32 s0, 0x42b17218
	v_cndmask_b32_e32 v3, 0, v3, vcc
	v_mov_b32_e32 v4, 0x7f800000
	v_cmp_nlt_f32_e32 vcc, s0, v2
	v_cndmask_b32_e32 v3, v4, v3, vcc
	v_fma_f32 v2, v2, 0.5, -2.0
	v_mov_b32_e32 v4, 0x24199b15
	v_sub_f32_e32 v1, v1, v5
	v_fmac_f32_e32 v4, 0xa2a2e5b9, v2
	v_mov_b32_e32 v5, 0x22a2e5b9
	v_fmac_f32_e32 v5, v2, v4
	v_add_f32_e32 v5, 0xa58c275c, v5
	v_fma_f32 v4, v2, v5, -v4
	v_add_f32_e32 v4, 0x26f736c5, v4
	v_fma_f32 v5, v2, v4, -v5
	;; [unrolled: 2-line block ×27, first 2 shown]
	v_add_f32_e32 v2, 0x3f2d4275, v2
	v_sub_f32_e32 v2, v2, v4
	v_mul_f32_e32 v2, 0.5, v2
	v_mul_f32_e32 v2, v3, v2
	v_mul_f32_e32 v1, v1, v2
	v_fma_f32 v0, v0, 0.5, -v1
	v_mul_f32_e32 v0, v3, v0
                                        ; implicit-def: $vgpr2
.LBB18_15:
	s_andn2_saveexec_b64 s[22:23], s[22:23]
	s_cbranch_execz .LBB18_17
; %bb.16:
	s_mov_b32 s24, 0x41000000
	v_div_scale_f32 v0, s[0:1], v2, v2, s24
	v_div_scale_f32 v1, vcc, s24, v2, s24
	s_mov_b32 s0, 0xf800000
	v_mul_f32_e32 v3, 0x4f800000, v2
	v_cmp_gt_f32_e64 s[0:1], s0, v2
	v_cndmask_b32_e64 v3, v2, v3, s[0:1]
	v_sqrt_f32_e32 v5, v3
	v_add_u32_e32 v9, 1, v5
	v_fma_f32 v11, -v9, v5, v3
	v_rcp_f32_e32 v4, v0
	v_fma_f32 v6, -v0, v4, 1.0
	v_fmac_f32_e32 v4, v6, v4
	v_mul_f32_e32 v6, v1, v4
	v_fma_f32 v8, -v0, v6, v1
	v_fmac_f32_e32 v6, v8, v4
	v_fma_f32 v0, -v0, v6, v1
	v_div_fmas_f32 v0, v0, v4, v6
	v_mov_b32_e32 v1, 0xa397f665
	v_mov_b32_e32 v4, 0xa2c38d2e
	v_add_u32_e32 v8, -1, v5
	v_fma_f32 v10, -v8, v5, v3
	v_cmp_ge_f32_e32 vcc, 0, v10
	v_cndmask_b32_e32 v5, v5, v8, vcc
	v_cmp_lt_f32_e32 vcc, 0, v11
	v_cndmask_b32_e32 v5, v5, v9, vcc
	v_mov_b32_e32 v6, 0x260
	v_mul_f32_e32 v8, 0x37800000, v5
	v_cndmask_b32_e64 v5, v5, v8, s[0:1]
	v_cmp_class_f32_e32 vcc, v3, v6
	v_cndmask_b32_e32 v3, v5, v3, vcc
	v_div_fixup_f32 v0, v0, v2, s24
	v_add_f32_e32 v0, -2.0, v0
	v_fmac_f32_e32 v1, 0x22c38d2e, v0
	v_fmac_f32_e32 v4, v0, v1
	v_add_f32_e32 v2, 0x24704972, v4
	v_fma_f32 v1, v0, v2, -v1
	v_add_f32_e32 v1, 0xa5417ca4, v1
	v_fma_f32 v2, v0, v1, -v2
	;; [unrolled: 2-line block ×22, first 2 shown]
	v_add_f32_e32 v0, 0x401c2ded, v0
	v_sub_f32_e32 v0, v0, v2
	v_mul_f32_e32 v0, 0.5, v0
	v_div_scale_f32 v1, s[0:1], v3, v3, v0
	v_div_scale_f32 v2, vcc, v0, v3, v0
	v_rcp_f32_e32 v4, v1
	v_fma_f32 v5, -v1, v4, 1.0
	v_fmac_f32_e32 v4, v5, v4
	v_mul_f32_e32 v5, v2, v4
	v_fma_f32 v6, -v1, v5, v2
	v_fmac_f32_e32 v5, v6, v4
	v_fma_f32 v1, -v1, v5, v2
	v_div_fmas_f32 v1, v1, v4, v5
	v_div_fixup_f32 v0, v1, v3, v0
.LBB18_17:
	s_or_b64 exec, exec, s[22:23]
.LBB18_18:
	s_or_b64 exec, exec, s[18:19]
.LBB18_19:
	s_or_b64 exec, exec, s[6:7]
	v_mul_lo_u32 v1, v7, s2
	v_mov_b32_e32 v3, s9
	s_and_b32 s24, s33, 0xff
	s_cmp_lt_i32 s24, 11
	v_ashrrev_i32_e32 v4, 31, v1
	v_add_co_u32_e32 v2, vcc, s8, v1
	v_addc_co_u32_e32 v3, vcc, v3, v4, vcc
	s_cbranch_scc1 .LBB18_27
; %bb.20:
	s_and_b32 s25, 0xffff, s24
	s_cmp_gt_i32 s25, 25
	s_cbranch_scc0 .LBB18_31
; %bb.21:
	s_cmp_gt_i32 s25, 28
	s_cbranch_scc0 .LBB18_33
; %bb.22:
	;; [unrolled: 3-line block ×4, first 2 shown]
	s_mov_b64 s[18:19], 0
	s_mov_b64 s[0:1], -1
	s_cmp_eq_u32 s25, 46
	s_mov_b64 s[6:7], 0
	s_cbranch_scc0 .LBB18_42
; %bb.25:
	v_bfe_u32 v1, v0, 16, 1
	s_movk_i32 s0, 0x7fff
	v_add3_u32 v1, v0, v1, s0
	v_cmp_o_f32_e32 vcc, v0, v0
	v_mov_b32_e32 v4, 0x7fc0
	v_cndmask_b32_sdwa v1, v4, v1, vcc dst_sel:DWORD dst_unused:UNUSED_PAD src0_sel:DWORD src1_sel:WORD_1
	global_store_dword v[2:3], v1, off
	s_mov_b64 s[6:7], -1
	s_mov_b64 s[0:1], 0
	s_branch .LBB18_42
.LBB18_26:
	s_mov_b64 s[0:1], 0
                                        ; implicit-def: $vgpr2
	s_cbranch_execnz .LBB18_176
	s_branch .LBB18_210
.LBB18_27:
	s_mov_b64 s[0:1], 0
	s_mov_b64 s[6:7], 0
	s_cbranch_execnz .LBB18_111
.LBB18_28:
	s_andn2_b64 vcc, exec, s[6:7]
	s_cbranch_vccnz .LBB18_149
.LBB18_29:
	v_add_u32_e32 v7, 0x80, v7
	s_mov_b64 s[18:19], -1
	s_branch .LBB18_259
.LBB18_30:
	s_mov_b64 s[6:7], -1
	s_mov_b64 s[0:1], 0
                                        ; implicit-def: $vgpr2
	s_branch .LBB18_157
.LBB18_31:
	s_mov_b64 s[18:19], -1
	s_mov_b64 s[0:1], 0
	s_mov_b64 s[6:7], 0
	s_branch .LBB18_69
.LBB18_32:
	s_mov_b64 s[6:7], -1
	s_mov_b64 s[0:1], 0
                                        ; implicit-def: $vgpr2
	s_branch .LBB18_152
.LBB18_33:
	s_mov_b64 s[18:19], -1
	s_mov_b64 s[0:1], 0
	s_mov_b64 s[6:7], 0
	s_branch .LBB18_52
.LBB18_34:
	s_mov_b64 s[6:7], -1
	s_branch .LBB18_37
.LBB18_35:
	s_mov_b64 s[18:19], -1
	s_mov_b64 s[0:1], 0
	s_mov_b64 s[6:7], 0
	s_branch .LBB18_48
.LBB18_36:
	s_mov_b64 s[14:15], -1
.LBB18_37:
	s_mov_b64 s[0:1], 0
                                        ; implicit-def: $vgpr2
.LBB18_38:
	s_and_b64 vcc, exec, s[6:7]
	s_cbranch_vccz .LBB18_151
; %bb.39:
	s_cmp_eq_u32 s22, 44
	s_cbranch_scc0 .LBB18_150
; %bb.40:
	global_load_ubyte v2, v[0:1], off
	s_movk_i32 s6, 0xff
	v_mov_b32_e32 v3, 0x7f800001
	v_mov_b32_e32 v4, 0x400000
	s_mov_b64 s[0:1], -1
	s_mov_b64 s[14:15], 0
	s_waitcnt vmcnt(0)
	v_lshlrev_b32_e32 v5, 23, v2
	v_cmp_ne_u32_e32 vcc, s6, v2
	v_cndmask_b32_e32 v3, v3, v5, vcc
	v_cmp_ne_u32_e32 vcc, 0, v2
	v_cndmask_b32_e32 v2, v4, v3, vcc
	s_branch .LBB18_151
.LBB18_41:
	s_mov_b64 s[18:19], -1
	s_mov_b64 s[0:1], 0
	s_mov_b64 s[6:7], 0
.LBB18_42:
	s_and_b64 vcc, exec, s[18:19]
	s_cbranch_vccz .LBB18_47
; %bb.43:
	s_cmp_eq_u32 s25, 44
	s_mov_b64 s[0:1], -1
	s_cbranch_scc0 .LBB18_47
; %bb.44:
	v_bfe_u32 v1, v0, 23, 8
	s_movk_i32 s0, 0xff
	v_cmp_ne_u32_e32 vcc, s0, v1
	v_mov_b32_e32 v4, 0xff
	s_and_saveexec_b64 s[6:7], vcc
; %bb.45:
	s_mov_b32 s0, 0x3fffff
	v_and_b32_e32 v5, 0x400000, v0
	v_and_or_b32 v1, v0, s0, v1
	v_cmp_ne_u32_e32 vcc, 0, v5
	v_cmp_ne_u32_e64 s[0:1], 0, v1
	s_and_b64 s[0:1], vcc, s[0:1]
	v_lshrrev_b32_e32 v4, 23, v0
	v_cndmask_b32_e64 v1, 0, 1, s[0:1]
	v_add_u32_e32 v4, v4, v1
; %bb.46:
	s_or_b64 exec, exec, s[6:7]
	s_mov_b64 s[6:7], -1
	s_mov_b64 s[0:1], 0
	global_store_byte v[2:3], v4, off
.LBB18_47:
	s_mov_b64 s[18:19], 0
.LBB18_48:
	s_and_b64 vcc, exec, s[18:19]
	s_cbranch_vccz .LBB18_51
; %bb.49:
	s_cmp_eq_u32 s25, 29
	s_mov_b64 s[0:1], -1
	s_cbranch_scc0 .LBB18_51
; %bb.50:
	v_trunc_f32_e32 v1, v0
	v_mul_f32_e32 v4, 0x2f800000, v1
	v_floor_f32_e32 v4, v4
	v_fmac_f32_e32 v1, 0xcf800000, v4
	v_cvt_u32_f32_e32 v5, v4
	v_cvt_u32_f32_e32 v4, v1
	s_mov_b64 s[6:7], -1
	s_mov_b64 s[0:1], 0
	s_mov_b64 s[18:19], 0
	global_store_dwordx2 v[2:3], v[4:5], off
	s_branch .LBB18_52
.LBB18_51:
	s_mov_b64 s[18:19], 0
.LBB18_52:
	s_and_b64 vcc, exec, s[18:19]
	s_cbranch_vccz .LBB18_68
; %bb.53:
	s_cmp_lt_i32 s25, 27
	s_mov_b64 s[6:7], -1
	s_cbranch_scc1 .LBB18_59
; %bb.54:
	v_cvt_u32_f32_e32 v1, v0
	s_cmp_gt_i32 s25, 27
	s_cbranch_scc0 .LBB18_56
; %bb.55:
	s_mov_b64 s[6:7], 0
	global_store_dword v[2:3], v1, off
.LBB18_56:
	s_andn2_b64 vcc, exec, s[6:7]
	s_cbranch_vccnz .LBB18_58
; %bb.57:
	global_store_short v[2:3], v1, off
.LBB18_58:
	s_mov_b64 s[6:7], 0
.LBB18_59:
	s_andn2_b64 vcc, exec, s[6:7]
	s_cbranch_vccnz .LBB18_67
; %bb.60:
	v_and_b32_e32 v1, 0x7fffffff, v0
	s_mov_b32 s6, 0x43800000
	v_cmp_gt_u32_e32 vcc, s6, v1
	v_mov_b32_e32 v4, 0x80
	s_and_saveexec_b64 s[6:7], vcc
	s_cbranch_execz .LBB18_66
; %bb.61:
	s_mov_b32 s18, 0x3bffffff
	v_cmp_lt_u32_e32 vcc, s18, v1
	s_mov_b64 s[18:19], 0
                                        ; implicit-def: $vgpr1
	s_and_saveexec_b64 s[22:23], vcc
	s_xor_b64 s[22:23], exec, s[22:23]
	s_cbranch_execz .LBB18_295
; %bb.62:
	v_bfe_u32 v1, v0, 20, 1
	s_mov_b32 s26, 0x487ffff
	v_add3_u32 v1, v0, v1, s26
	s_mov_b64 s[18:19], exec
	v_lshrrev_b32_e32 v1, 20, v1
	s_andn2_saveexec_b64 s[22:23], s[22:23]
	s_cbranch_execnz .LBB18_296
.LBB18_63:
	s_or_b64 exec, exec, s[22:23]
	v_mov_b32_e32 v4, 0
	s_and_saveexec_b64 s[22:23], s[18:19]
.LBB18_64:
	v_lshrrev_b32_e32 v4, 24, v0
	s_movk_i32 s18, 0x80
	v_and_or_b32 v4, v4, s18, v1
.LBB18_65:
	s_or_b64 exec, exec, s[22:23]
.LBB18_66:
	s_or_b64 exec, exec, s[6:7]
	global_store_byte v[2:3], v4, off
.LBB18_67:
	s_mov_b64 s[6:7], -1
.LBB18_68:
	s_mov_b64 s[18:19], 0
.LBB18_69:
	s_and_b64 vcc, exec, s[18:19]
	s_cbranch_vccz .LBB18_110
; %bb.70:
	s_cmp_gt_i32 s25, 22
	s_mov_b64 s[18:19], -1
	s_cbranch_scc0 .LBB18_102
; %bb.71:
	s_cmp_lt_i32 s25, 24
	s_mov_b64 s[6:7], -1
	s_cbranch_scc1 .LBB18_91
; %bb.72:
	s_cmp_gt_i32 s25, 24
	s_cbranch_scc0 .LBB18_80
; %bb.73:
	v_and_b32_e32 v1, 0x7fffffff, v0
	s_mov_b32 s6, 0x47800000
	v_cmp_gt_u32_e32 vcc, s6, v1
	v_mov_b32_e32 v4, 0x80
	s_and_saveexec_b64 s[6:7], vcc
	s_cbranch_execz .LBB18_79
; %bb.74:
	s_mov_b32 s18, 0x37ffffff
	v_cmp_lt_u32_e32 vcc, s18, v1
	s_mov_b64 s[18:19], 0
                                        ; implicit-def: $vgpr1
	s_and_saveexec_b64 s[22:23], vcc
	s_xor_b64 s[22:23], exec, s[22:23]
	s_cbranch_execz .LBB18_299
; %bb.75:
	v_bfe_u32 v1, v0, 21, 1
	s_mov_b32 s26, 0x88fffff
	v_add3_u32 v1, v0, v1, s26
	s_mov_b64 s[18:19], exec
	v_lshrrev_b32_e32 v1, 21, v1
	s_andn2_saveexec_b64 s[22:23], s[22:23]
	s_cbranch_execnz .LBB18_300
.LBB18_76:
	s_or_b64 exec, exec, s[22:23]
	v_mov_b32_e32 v4, 0
	s_and_saveexec_b64 s[22:23], s[18:19]
.LBB18_77:
	v_lshrrev_b32_e32 v4, 24, v0
	s_movk_i32 s18, 0x80
	v_and_or_b32 v4, v4, s18, v1
.LBB18_78:
	s_or_b64 exec, exec, s[22:23]
.LBB18_79:
	s_or_b64 exec, exec, s[6:7]
	s_mov_b64 s[6:7], 0
	global_store_byte v[2:3], v4, off
.LBB18_80:
	s_and_b64 vcc, exec, s[6:7]
	s_cbranch_vccz .LBB18_90
; %bb.81:
	v_and_b32_e32 v4, 0x7fffffff, v0
	s_mov_b32 s6, 0x43f00000
	v_cmp_gt_u32_e32 vcc, s6, v4
                                        ; implicit-def: $vgpr1
	s_and_saveexec_b64 s[6:7], vcc
	s_xor_b64 s[6:7], exec, s[6:7]
	s_cbranch_execz .LBB18_87
; %bb.82:
	s_mov_b32 s18, 0x3c7fffff
	v_cmp_lt_u32_e32 vcc, s18, v4
                                        ; implicit-def: $vgpr1
	s_and_saveexec_b64 s[18:19], vcc
	s_xor_b64 s[18:19], exec, s[18:19]
; %bb.83:
	v_bfe_u32 v1, v0, 20, 1
	s_mov_b32 s22, 0x407ffff
	v_add3_u32 v1, v0, v1, s22
	v_lshrrev_b32_e32 v4, 20, v1
	v_and_b32_e32 v1, 0xff00000, v1
	s_mov_b32 s22, 0x7f00000
	v_mov_b32_e32 v5, 0x7e
	v_cmp_ne_u32_e32 vcc, s22, v1
	v_cndmask_b32_e32 v1, v5, v4, vcc
; %bb.84:
	s_andn2_saveexec_b64 s[18:19], s[18:19]
; %bb.85:
	s_mov_b32 s22, 0x46800000
	v_add_f32_e64 v1, |v0|, s22
; %bb.86:
	s_or_b64 exec, exec, s[18:19]
                                        ; implicit-def: $vgpr4
.LBB18_87:
	s_andn2_saveexec_b64 s[6:7], s[6:7]
; %bb.88:
	s_mov_b32 s18, 0x7f800000
	v_mov_b32_e32 v1, 0x7e
	v_mov_b32_e32 v5, 0x7f
	v_cmp_lt_u32_e32 vcc, s18, v4
	v_cndmask_b32_e32 v1, v1, v5, vcc
; %bb.89:
	s_or_b64 exec, exec, s[6:7]
	v_lshrrev_b32_e32 v4, 24, v0
	s_movk_i32 s6, 0x80
	v_and_or_b32 v1, v4, s6, v1
	global_store_byte v[2:3], v1, off
.LBB18_90:
	s_mov_b64 s[6:7], 0
.LBB18_91:
	s_andn2_b64 vcc, exec, s[6:7]
	s_cbranch_vccnz .LBB18_101
; %bb.92:
	v_and_b32_e32 v4, 0x7fffffff, v0
	s_mov_b32 s6, 0x47800000
	v_cmp_gt_u32_e32 vcc, s6, v4
                                        ; implicit-def: $vgpr1
	s_and_saveexec_b64 s[6:7], vcc
	s_xor_b64 s[6:7], exec, s[6:7]
	s_cbranch_execz .LBB18_98
; %bb.93:
	s_mov_b32 s18, 0x387fffff
	v_cmp_lt_u32_e32 vcc, s18, v4
                                        ; implicit-def: $vgpr1
	s_and_saveexec_b64 s[18:19], vcc
	s_xor_b64 s[18:19], exec, s[18:19]
; %bb.94:
	v_bfe_u32 v1, v0, 21, 1
	s_mov_b32 s22, 0x80fffff
	v_add3_u32 v1, v0, v1, s22
	v_lshrrev_b32_e32 v1, 21, v1
; %bb.95:
	s_andn2_saveexec_b64 s[18:19], s[18:19]
; %bb.96:
	s_mov_b32 s22, 0x43000000
	v_add_f32_e64 v1, |v0|, s22
; %bb.97:
	s_or_b64 exec, exec, s[18:19]
                                        ; implicit-def: $vgpr4
.LBB18_98:
	s_andn2_saveexec_b64 s[6:7], s[6:7]
; %bb.99:
	s_mov_b32 s18, 0x7f800000
	v_mov_b32_e32 v1, 0x7c
	v_mov_b32_e32 v5, 0x7f
	v_cmp_lt_u32_e32 vcc, s18, v4
	v_cndmask_b32_e32 v1, v1, v5, vcc
; %bb.100:
	s_or_b64 exec, exec, s[6:7]
	v_lshrrev_b32_e32 v4, 24, v0
	s_movk_i32 s6, 0x80
	v_and_or_b32 v1, v4, s6, v1
	global_store_byte v[2:3], v1, off
.LBB18_101:
	s_mov_b64 s[18:19], 0
	s_mov_b64 s[6:7], -1
.LBB18_102:
	s_andn2_b64 vcc, exec, s[18:19]
	s_cbranch_vccnz .LBB18_110
; %bb.103:
	s_cmp_gt_i32 s25, 14
	s_mov_b64 s[18:19], -1
	s_cbranch_scc0 .LBB18_107
; %bb.104:
	s_cmp_eq_u32 s25, 15
	s_mov_b64 s[0:1], -1
	s_cbranch_scc0 .LBB18_106
; %bb.105:
	v_bfe_u32 v1, v0, 16, 1
	s_movk_i32 s0, 0x7fff
	v_add3_u32 v1, v0, v1, s0
	v_cmp_o_f32_e32 vcc, v0, v0
	v_mov_b32_e32 v4, 0x7fc0
	v_cndmask_b32_sdwa v1, v4, v1, vcc dst_sel:DWORD dst_unused:UNUSED_PAD src0_sel:DWORD src1_sel:WORD_1
	global_store_short v[2:3], v1, off
	s_mov_b64 s[6:7], -1
	s_mov_b64 s[0:1], 0
.LBB18_106:
	s_mov_b64 s[18:19], 0
.LBB18_107:
	s_and_b64 vcc, exec, s[18:19]
	s_cbranch_vccz .LBB18_110
; %bb.108:
	s_cmp_eq_u32 s25, 11
	s_mov_b64 s[0:1], -1
	s_cbranch_scc0 .LBB18_110
; %bb.109:
	v_cmp_neq_f32_e32 vcc, 0, v0
	v_cndmask_b32_e64 v1, 0, 1, vcc
	s_mov_b64 s[6:7], -1
	s_mov_b64 s[0:1], 0
	global_store_byte v[2:3], v1, off
.LBB18_110:
	s_branch .LBB18_28
.LBB18_111:
	s_and_b32 s18, 0xffff, s24
	s_cmp_lt_i32 s18, 5
	s_mov_b64 s[6:7], -1
	s_cbranch_scc1 .LBB18_132
; %bb.112:
	s_cmp_lt_i32 s18, 8
	s_cbranch_scc1 .LBB18_122
; %bb.113:
	s_cmp_lt_i32 s18, 9
	s_cbranch_scc1 .LBB18_119
; %bb.114:
	s_cmp_gt_i32 s18, 9
	s_cbranch_scc0 .LBB18_116
; %bb.115:
	v_cvt_f64_f32_e32 v[8:9], v0
	v_mov_b32_e32 v10, 0
	v_mov_b32_e32 v11, v10
	s_mov_b64 s[6:7], 0
	global_store_dwordx4 v[2:3], v[8:11], off
.LBB18_116:
	s_andn2_b64 vcc, exec, s[6:7]
	s_cbranch_vccnz .LBB18_118
; %bb.117:
	v_mov_b32_e32 v1, 0
	global_store_dwordx2 v[2:3], v[0:1], off
.LBB18_118:
	s_mov_b64 s[6:7], 0
.LBB18_119:
	s_andn2_b64 vcc, exec, s[6:7]
	s_cbranch_vccnz .LBB18_121
; %bb.120:
	v_cvt_f16_f32_e32 v1, v0
	global_store_dword v[2:3], v1, off
.LBB18_121:
	s_mov_b64 s[6:7], 0
.LBB18_122:
	s_andn2_b64 vcc, exec, s[6:7]
	s_cbranch_vccnz .LBB18_131
; %bb.123:
	s_cmp_lt_i32 s18, 6
	s_mov_b64 s[6:7], -1
	s_cbranch_scc1 .LBB18_129
; %bb.124:
	s_cmp_gt_i32 s18, 6
	s_cbranch_scc0 .LBB18_126
; %bb.125:
	v_cvt_f64_f32_e32 v[4:5], v0
	s_mov_b64 s[6:7], 0
	global_store_dwordx2 v[2:3], v[4:5], off
.LBB18_126:
	s_andn2_b64 vcc, exec, s[6:7]
	s_cbranch_vccnz .LBB18_128
; %bb.127:
	global_store_dword v[2:3], v0, off
.LBB18_128:
	s_mov_b64 s[6:7], 0
.LBB18_129:
	s_andn2_b64 vcc, exec, s[6:7]
	s_cbranch_vccnz .LBB18_131
; %bb.130:
	v_cvt_f16_f32_e32 v1, v0
	global_store_short v[2:3], v1, off
.LBB18_131:
	s_mov_b64 s[6:7], 0
.LBB18_132:
	s_andn2_b64 vcc, exec, s[6:7]
	s_cbranch_vccnz .LBB18_148
; %bb.133:
	s_cmp_lt_i32 s18, 2
	s_mov_b64 s[6:7], -1
	s_cbranch_scc1 .LBB18_143
; %bb.134:
	s_cmp_lt_i32 s18, 3
	s_cbranch_scc1 .LBB18_140
; %bb.135:
	s_cmp_gt_i32 s18, 3
	s_cbranch_scc0 .LBB18_137
; %bb.136:
	v_trunc_f32_e32 v1, v0
	s_mov_b32 s6, 0x2f800000
	v_mul_f32_e64 v4, |v1|, s6
	v_floor_f32_e32 v4, v4
	s_mov_b32 s6, 0xcf800000
	v_cvt_u32_f32_e32 v5, v4
	v_fma_f32 v4, v4, s6, |v1|
	v_cvt_u32_f32_e32 v4, v4
	v_ashrrev_i32_e32 v1, 31, v1
	v_xor_b32_e32 v5, v5, v1
	s_mov_b64 s[6:7], 0
	v_xor_b32_e32 v4, v4, v1
	v_sub_co_u32_e32 v4, vcc, v4, v1
	v_subb_co_u32_e32 v5, vcc, v5, v1, vcc
	global_store_dwordx2 v[2:3], v[4:5], off
.LBB18_137:
	s_andn2_b64 vcc, exec, s[6:7]
	s_cbranch_vccnz .LBB18_139
; %bb.138:
	v_cvt_i32_f32_e32 v1, v0
	global_store_dword v[2:3], v1, off
.LBB18_139:
	s_mov_b64 s[6:7], 0
.LBB18_140:
	s_andn2_b64 vcc, exec, s[6:7]
	s_cbranch_vccnz .LBB18_142
; %bb.141:
	v_cvt_i32_f32_e32 v1, v0
	global_store_short v[2:3], v1, off
.LBB18_142:
	s_mov_b64 s[6:7], 0
.LBB18_143:
	s_andn2_b64 vcc, exec, s[6:7]
	s_cbranch_vccnz .LBB18_148
; %bb.144:
	s_cmp_gt_i32 s18, 0
	s_mov_b64 s[6:7], -1
	s_cbranch_scc0 .LBB18_146
; %bb.145:
	v_cvt_i32_f32_e32 v1, v0
	s_mov_b64 s[6:7], 0
	global_store_byte v[2:3], v1, off
.LBB18_146:
	s_andn2_b64 vcc, exec, s[6:7]
	s_cbranch_vccnz .LBB18_148
; %bb.147:
	v_trunc_f32_e32 v0, v0
	s_mov_b32 s6, 0x2f800000
	v_mul_f32_e64 v1, |v0|, s6
	v_floor_f32_e32 v1, v1
	s_mov_b32 s6, 0xcf800000
	v_fma_f32 v1, v1, s6, |v0|
	v_cvt_u32_f32_e32 v1, v1
	v_ashrrev_i32_e32 v0, 31, v0
	v_xor_b32_e32 v1, v1, v0
	v_sub_u32_e32 v0, v1, v0
	global_store_byte v[2:3], v0, off
.LBB18_148:
	s_branch .LBB18_29
.LBB18_149:
	s_mov_b64 s[18:19], 0
                                        ; implicit-def: $vgpr7
	s_branch .LBB18_259
.LBB18_150:
	s_mov_b64 s[14:15], -1
                                        ; implicit-def: $vgpr2
.LBB18_151:
	s_mov_b64 s[6:7], 0
.LBB18_152:
	s_and_b64 vcc, exec, s[6:7]
	s_cbranch_vccz .LBB18_156
; %bb.153:
	s_cmp_eq_u32 s22, 29
	s_cbranch_scc0 .LBB18_155
; %bb.154:
	global_load_dwordx2 v[2:3], v[0:1], off
	s_mov_b64 s[0:1], -1
	s_mov_b64 s[14:15], 0
	s_mov_b64 s[6:7], 0
	s_waitcnt vmcnt(0)
	v_ffbh_u32_e32 v4, v3
	v_min_u32_e32 v4, 32, v4
	v_lshlrev_b64 v[2:3], v4, v[2:3]
	v_min_u32_e32 v2, 1, v2
	v_or_b32_e32 v2, v3, v2
	v_cvt_f32_u32_e32 v2, v2
	v_sub_u32_e32 v3, 32, v4
	v_ldexp_f32 v2, v2, v3
	s_branch .LBB18_157
.LBB18_155:
	s_mov_b64 s[14:15], -1
                                        ; implicit-def: $vgpr2
.LBB18_156:
	s_mov_b64 s[6:7], 0
.LBB18_157:
	s_and_b64 vcc, exec, s[6:7]
	s_cbranch_vccz .LBB18_175
; %bb.158:
	s_cmp_lt_i32 s22, 27
	s_cbranch_scc1 .LBB18_161
; %bb.159:
	s_cmp_gt_i32 s22, 27
	s_cbranch_scc0 .LBB18_162
; %bb.160:
	global_load_dword v2, v[0:1], off
	s_mov_b64 s[0:1], 0
	s_waitcnt vmcnt(0)
	v_cvt_f32_u32_e32 v2, v2
	s_branch .LBB18_163
.LBB18_161:
	s_mov_b64 s[0:1], -1
                                        ; implicit-def: $vgpr2
	s_branch .LBB18_166
.LBB18_162:
	s_mov_b64 s[0:1], -1
                                        ; implicit-def: $vgpr2
.LBB18_163:
	s_andn2_b64 vcc, exec, s[0:1]
	s_cbranch_vccnz .LBB18_165
; %bb.164:
	global_load_ushort v2, v[0:1], off
	s_waitcnt vmcnt(0)
	v_cvt_f32_u32_e32 v2, v2
.LBB18_165:
	s_mov_b64 s[0:1], 0
.LBB18_166:
	s_andn2_b64 vcc, exec, s[0:1]
	s_cbranch_vccnz .LBB18_174
; %bb.167:
	global_load_ubyte v3, v[0:1], off
	s_movk_i32 s0, 0x7f
	s_waitcnt vmcnt(0)
	v_cmp_lt_i16_e32 vcc, s0, v3
	s_mov_b64 s[0:1], 0
	s_and_saveexec_b64 s[6:7], vcc
	s_xor_b64 s[6:7], exec, s[6:7]
	s_cbranch_execz .LBB18_187
; %bb.168:
	s_movk_i32 s0, 0x80
	v_cmp_eq_u16_e32 vcc, s0, v3
	s_mov_b64 s[0:1], -1
	s_and_saveexec_b64 s[18:19], vcc
; %bb.169:
	s_xor_b64 s[0:1], exec, -1
; %bb.170:
	s_or_b64 exec, exec, s[18:19]
	s_and_b64 s[0:1], s[0:1], exec
	s_or_saveexec_b64 s[6:7], s[6:7]
	v_mov_b32_e32 v2, 0x7f800001
	s_xor_b64 exec, exec, s[6:7]
	s_cbranch_execnz .LBB18_188
.LBB18_171:
	s_or_b64 exec, exec, s[6:7]
	s_and_saveexec_b64 s[6:7], s[0:1]
	s_cbranch_execz .LBB18_173
.LBB18_172:
	v_lshlrev_b32_e32 v2, 24, v3
	v_and_b32_e32 v3, 0xffff, v3
	v_and_b32_e32 v4, 7, v3
	v_ffbh_u32_e32 v6, v4
	v_min_u32_e32 v6, 32, v6
	v_subrev_u32_e32 v8, 28, v6
	v_bfe_u32 v5, v3, 3, 4
	v_lshlrev_b32_e32 v3, v8, v3
	v_sub_u32_e32 v6, 29, v6
	v_and_b32_e32 v3, 7, v3
	v_cmp_eq_u32_e32 vcc, 0, v5
	v_cndmask_b32_e32 v5, v5, v6, vcc
	v_cndmask_b32_e32 v3, v4, v3, vcc
	v_mov_b32_e32 v4, 0x3b800000
	v_lshlrev_b32_e32 v3, 20, v3
	v_and_b32_e32 v2, 0x80000000, v2
	v_lshl_add_u32 v4, v5, 23, v4
	v_or3_b32 v2, v2, v4, v3
.LBB18_173:
	s_or_b64 exec, exec, s[6:7]
.LBB18_174:
	s_mov_b64 s[0:1], -1
.LBB18_175:
	s_branch .LBB18_210
.LBB18_176:
	s_cmp_gt_i32 s22, 22
	s_cbranch_scc0 .LBB18_186
; %bb.177:
	s_cmp_lt_i32 s22, 24
	s_cbranch_scc1 .LBB18_189
; %bb.178:
	s_cmp_gt_i32 s22, 24
	s_cbranch_scc0 .LBB18_190
; %bb.179:
	global_load_ubyte v3, v[0:1], off
	s_movk_i32 s0, 0x7f
	s_waitcnt vmcnt(0)
	v_cmp_lt_i16_e32 vcc, s0, v3
	s_mov_b64 s[0:1], 0
	s_and_saveexec_b64 s[6:7], vcc
	s_xor_b64 s[6:7], exec, s[6:7]
	s_cbranch_execz .LBB18_202
; %bb.180:
	s_movk_i32 s0, 0x80
	v_cmp_eq_u16_e32 vcc, s0, v3
	s_mov_b64 s[0:1], -1
	s_and_saveexec_b64 s[18:19], vcc
; %bb.181:
	s_xor_b64 s[0:1], exec, -1
; %bb.182:
	s_or_b64 exec, exec, s[18:19]
	s_and_b64 s[0:1], s[0:1], exec
	s_or_saveexec_b64 s[6:7], s[6:7]
	v_mov_b32_e32 v2, 0x7f800001
	s_xor_b64 exec, exec, s[6:7]
	s_cbranch_execnz .LBB18_203
.LBB18_183:
	s_or_b64 exec, exec, s[6:7]
	s_and_saveexec_b64 s[6:7], s[0:1]
	s_cbranch_execz .LBB18_185
.LBB18_184:
	v_lshlrev_b32_e32 v2, 24, v3
	v_and_b32_e32 v3, 0xffff, v3
	v_and_b32_e32 v4, 3, v3
	v_ffbh_u32_e32 v6, v4
	v_min_u32_e32 v6, 32, v6
	v_subrev_u32_e32 v8, 29, v6
	v_bfe_u32 v5, v3, 2, 5
	v_lshlrev_b32_e32 v3, v8, v3
	v_sub_u32_e32 v6, 30, v6
	v_and_b32_e32 v3, 3, v3
	v_cmp_eq_u32_e32 vcc, 0, v5
	v_cndmask_b32_e32 v5, v5, v6, vcc
	v_cndmask_b32_e32 v3, v4, v3, vcc
	v_mov_b32_e32 v4, 0x37800000
	v_lshlrev_b32_e32 v3, 21, v3
	v_and_b32_e32 v2, 0x80000000, v2
	v_lshl_add_u32 v4, v5, 23, v4
	v_or3_b32 v2, v2, v4, v3
.LBB18_185:
	s_or_b64 exec, exec, s[6:7]
	s_mov_b64 s[0:1], 0
	s_branch .LBB18_191
.LBB18_186:
	s_mov_b64 s[6:7], -1
                                        ; implicit-def: $vgpr2
	s_branch .LBB18_197
.LBB18_187:
	s_or_saveexec_b64 s[6:7], s[6:7]
	v_mov_b32_e32 v2, 0x7f800001
	s_xor_b64 exec, exec, s[6:7]
	s_cbranch_execz .LBB18_171
.LBB18_188:
	v_cmp_ne_u16_e32 vcc, 0, v3
	s_andn2_b64 s[0:1], s[0:1], exec
	s_and_b64 s[18:19], vcc, exec
	v_mov_b32_e32 v2, 0
	s_or_b64 s[0:1], s[0:1], s[18:19]
	s_or_b64 exec, exec, s[6:7]
	s_and_saveexec_b64 s[6:7], s[0:1]
	s_cbranch_execnz .LBB18_172
	s_branch .LBB18_173
.LBB18_189:
	s_mov_b64 s[0:1], -1
                                        ; implicit-def: $vgpr2
	s_branch .LBB18_194
.LBB18_190:
	s_mov_b64 s[0:1], -1
                                        ; implicit-def: $vgpr2
.LBB18_191:
	s_and_b64 vcc, exec, s[0:1]
	s_cbranch_vccz .LBB18_193
; %bb.192:
	global_load_ubyte v2, v[0:1], off
	s_mov_b32 s0, 0x7f800000
	s_waitcnt vmcnt(0)
	v_lshlrev_b32_e32 v2, 24, v2
	v_and_b32_e32 v3, 0x7f000000, v2
	v_ffbh_u32_e32 v4, v3
	v_min_u32_e32 v4, 32, v4
	v_sub_u32_e64 v4, v4, 4 clamp
	v_lshlrev_b32_e32 v6, v4, v3
	v_lshlrev_b32_e32 v4, 23, v4
	v_lshrrev_b32_e32 v6, 4, v6
	v_add_u32_e32 v5, 0x1000000, v3
	v_sub_u32_e32 v4, v6, v4
	v_ashrrev_i32_e32 v5, 8, v5
	v_add_u32_e32 v4, 0x3c000000, v4
	v_and_or_b32 v4, v5, s0, v4
	v_cmp_ne_u32_e32 vcc, 0, v3
	v_cndmask_b32_e32 v3, 0, v4, vcc
	s_brev_b32 s0, 1
	v_and_or_b32 v2, v2, s0, v3
.LBB18_193:
	s_mov_b64 s[0:1], 0
.LBB18_194:
	s_andn2_b64 vcc, exec, s[0:1]
	s_cbranch_vccnz .LBB18_196
; %bb.195:
	global_load_ubyte v2, v[0:1], off
	s_movk_i32 s0, 0x7f00
	s_brev_b32 s1, 16
	s_waitcnt vmcnt(0)
	v_lshlrev_b16_e32 v3, 8, v2
	v_lshlrev_b32_e32 v2, 25, v2
	v_lshrrev_b32_e32 v4, 4, v2
	v_and_or_b32 v5, v3, s0, 0.5
	v_or_b32_e32 v4, 0x70000000, v4
	v_add_f32_e32 v5, -0.5, v5
	v_mul_f32_e32 v4, 0x7800000, v4
	v_cmp_gt_u32_e32 vcc, s1, v2
	v_bfe_i32 v3, v3, 0, 16
	v_cndmask_b32_e32 v2, v4, v5, vcc
	s_brev_b32 s0, 1
	v_and_or_b32 v2, v3, s0, v2
.LBB18_196:
	s_mov_b64 s[6:7], 0
	s_mov_b64 s[0:1], -1
.LBB18_197:
	s_andn2_b64 vcc, exec, s[6:7]
	s_cbranch_vccnz .LBB18_210
; %bb.198:
	s_cmp_gt_i32 s22, 14
	s_cbranch_scc0 .LBB18_201
; %bb.199:
	s_cmp_eq_u32 s22, 15
	s_cbranch_scc0 .LBB18_204
; %bb.200:
	global_load_ushort v2, v[0:1], off
	s_mov_b64 s[0:1], -1
	s_mov_b64 s[14:15], 0
	s_waitcnt vmcnt(0)
	v_lshlrev_b32_e32 v2, 16, v2
	s_branch .LBB18_205
.LBB18_201:
	s_mov_b64 s[6:7], -1
                                        ; implicit-def: $vgpr2
	s_branch .LBB18_206
.LBB18_202:
	s_or_saveexec_b64 s[6:7], s[6:7]
	v_mov_b32_e32 v2, 0x7f800001
	s_xor_b64 exec, exec, s[6:7]
	s_cbranch_execz .LBB18_183
.LBB18_203:
	v_cmp_ne_u16_e32 vcc, 0, v3
	s_andn2_b64 s[0:1], s[0:1], exec
	s_and_b64 s[18:19], vcc, exec
	v_mov_b32_e32 v2, 0
	s_or_b64 s[0:1], s[0:1], s[18:19]
	s_or_b64 exec, exec, s[6:7]
	s_and_saveexec_b64 s[6:7], s[0:1]
	s_cbranch_execnz .LBB18_184
	s_branch .LBB18_185
.LBB18_204:
	s_mov_b64 s[14:15], -1
                                        ; implicit-def: $vgpr2
.LBB18_205:
	s_mov_b64 s[6:7], 0
.LBB18_206:
	s_and_b64 vcc, exec, s[6:7]
	s_cbranch_vccz .LBB18_210
; %bb.207:
	s_cmp_eq_u32 s22, 11
	s_cbranch_scc0 .LBB18_209
; %bb.208:
	global_load_ubyte v2, v[0:1], off
	s_mov_b64 s[0:1], -1
	s_mov_b64 s[14:15], 0
	s_waitcnt vmcnt(0)
	v_cmp_ne_u16_e32 vcc, 0, v2
	v_cndmask_b32_e64 v2, 0, 1.0, vcc
	s_branch .LBB18_210
.LBB18_209:
	s_mov_b64 s[14:15], -1
                                        ; implicit-def: $vgpr2
.LBB18_210:
	s_branch .LBB18_10
.LBB18_211:
	s_cmp_lt_i32 s22, 5
	s_cbranch_scc1 .LBB18_216
; %bb.212:
	s_cmp_lt_i32 s22, 8
	s_cbranch_scc1 .LBB18_217
; %bb.213:
	;; [unrolled: 3-line block ×3, first 2 shown]
	s_cmp_gt_i32 s22, 9
	s_cbranch_scc0 .LBB18_219
; %bb.215:
	global_load_dwordx2 v[2:3], v[0:1], off
	s_mov_b64 s[0:1], 0
	s_waitcnt vmcnt(0)
	v_cvt_f32_f64_e32 v2, v[2:3]
	s_branch .LBB18_220
.LBB18_216:
                                        ; implicit-def: $vgpr2
	s_branch .LBB18_238
.LBB18_217:
	s_mov_b64 s[0:1], -1
                                        ; implicit-def: $vgpr2
	s_branch .LBB18_226
.LBB18_218:
	s_mov_b64 s[0:1], -1
                                        ; implicit-def: $vgpr2
	s_branch .LBB18_223
.LBB18_219:
	s_mov_b64 s[0:1], -1
                                        ; implicit-def: $vgpr2
.LBB18_220:
	s_andn2_b64 vcc, exec, s[0:1]
	s_cbranch_vccnz .LBB18_222
; %bb.221:
	global_load_dword v2, v[0:1], off
.LBB18_222:
	s_mov_b64 s[0:1], 0
.LBB18_223:
	s_andn2_b64 vcc, exec, s[0:1]
	s_cbranch_vccnz .LBB18_225
; %bb.224:
	global_load_dword v2, v[0:1], off
	s_waitcnt vmcnt(0)
	v_cvt_f32_f16_e32 v2, v2
.LBB18_225:
	s_mov_b64 s[0:1], 0
.LBB18_226:
	s_andn2_b64 vcc, exec, s[0:1]
	s_cbranch_vccnz .LBB18_237
; %bb.227:
	s_cmp_lt_i32 s22, 6
	s_cbranch_scc1 .LBB18_230
; %bb.228:
	s_cmp_gt_i32 s22, 6
	s_cbranch_scc0 .LBB18_231
; %bb.229:
	global_load_dwordx2 v[2:3], v[0:1], off
	s_mov_b64 s[0:1], 0
	s_waitcnt vmcnt(0)
	v_cvt_f32_f64_e32 v2, v[2:3]
	s_branch .LBB18_232
.LBB18_230:
	s_mov_b64 s[0:1], -1
                                        ; implicit-def: $vgpr2
	s_branch .LBB18_235
.LBB18_231:
	s_mov_b64 s[0:1], -1
                                        ; implicit-def: $vgpr2
.LBB18_232:
	s_andn2_b64 vcc, exec, s[0:1]
	s_cbranch_vccnz .LBB18_234
; %bb.233:
	global_load_dword v2, v[0:1], off
.LBB18_234:
	s_mov_b64 s[0:1], 0
.LBB18_235:
	s_andn2_b64 vcc, exec, s[0:1]
	s_cbranch_vccnz .LBB18_237
; %bb.236:
	global_load_ushort v2, v[0:1], off
	s_waitcnt vmcnt(0)
	v_cvt_f32_f16_e32 v2, v2
.LBB18_237:
	s_cbranch_execnz .LBB18_257
.LBB18_238:
	s_cmp_lt_i32 s22, 2
	s_cbranch_scc1 .LBB18_242
; %bb.239:
	s_cmp_lt_i32 s22, 3
	s_cbranch_scc1 .LBB18_243
; %bb.240:
	s_cmp_gt_i32 s22, 3
	s_cbranch_scc0 .LBB18_244
; %bb.241:
	global_load_dwordx2 v[2:3], v[0:1], off
	s_mov_b64 s[0:1], 0
	s_waitcnt vmcnt(0)
	v_xor_b32_e32 v5, v2, v3
	v_ffbh_i32_e32 v4, v3
	v_ashrrev_i32_e32 v5, 31, v5
	v_add_u32_e32 v4, -1, v4
	v_add_u32_e32 v5, 32, v5
	v_min_u32_e32 v4, v4, v5
	v_lshlrev_b64 v[2:3], v4, v[2:3]
	v_min_u32_e32 v2, 1, v2
	v_or_b32_e32 v2, v3, v2
	v_cvt_f32_i32_e32 v2, v2
	v_sub_u32_e32 v3, 32, v4
	v_ldexp_f32 v2, v2, v3
	s_branch .LBB18_245
.LBB18_242:
	s_mov_b64 s[0:1], -1
                                        ; implicit-def: $vgpr2
	s_branch .LBB18_251
.LBB18_243:
	s_mov_b64 s[0:1], -1
                                        ; implicit-def: $vgpr2
	s_branch .LBB18_248
.LBB18_244:
	s_mov_b64 s[0:1], -1
                                        ; implicit-def: $vgpr2
.LBB18_245:
	s_andn2_b64 vcc, exec, s[0:1]
	s_cbranch_vccnz .LBB18_247
; %bb.246:
	global_load_dword v2, v[0:1], off
	s_waitcnt vmcnt(0)
	v_cvt_f32_i32_e32 v2, v2
.LBB18_247:
	s_mov_b64 s[0:1], 0
.LBB18_248:
	s_andn2_b64 vcc, exec, s[0:1]
	s_cbranch_vccnz .LBB18_250
; %bb.249:
	global_load_sshort v2, v[0:1], off
	s_waitcnt vmcnt(0)
	v_cvt_f32_i32_e32 v2, v2
.LBB18_250:
	s_mov_b64 s[0:1], 0
.LBB18_251:
	s_andn2_b64 vcc, exec, s[0:1]
	s_cbranch_vccnz .LBB18_257
; %bb.252:
	s_cmp_gt_i32 s22, 0
	s_cbranch_scc0 .LBB18_254
; %bb.253:
	global_load_sbyte v2, v[0:1], off
	s_mov_b64 s[0:1], 0
	s_waitcnt vmcnt(0)
	v_cvt_f32_i32_e32 v2, v2
	s_branch .LBB18_255
.LBB18_254:
	s_mov_b64 s[0:1], -1
                                        ; implicit-def: $vgpr2
.LBB18_255:
	s_andn2_b64 vcc, exec, s[0:1]
	s_cbranch_vccnz .LBB18_257
; %bb.256:
	global_load_ubyte v0, v[0:1], off
	s_waitcnt vmcnt(0)
	v_cvt_f32_ubyte0_e32 v2, v0
.LBB18_257:
	s_branch .LBB18_11
.LBB18_258:
	s_mov_b64 s[0:1], 0
                                        ; implicit-def: $vgpr7
	s_mov_b64 s[18:19], 0
.LBB18_259:
	s_and_b64 s[6:7], s[0:1], exec
	s_and_b64 s[14:15], s[14:15], exec
	s_orn2_b64 s[18:19], s[18:19], exec
.LBB18_260:
	s_or_b64 exec, exec, s[16:17]
	s_mov_b64 s[22:23], 0
	s_mov_b64 s[0:1], 0
                                        ; implicit-def: $vgpr0_vgpr1
                                        ; implicit-def: $vgpr4
	s_and_saveexec_b64 s[16:17], s[18:19]
	s_cbranch_execz .LBB18_269
; %bb.261:
	v_cmp_gt_i32_e32 vcc, s38, v7
	s_mov_b64 s[0:1], -1
	s_mov_b64 s[18:19], s[14:15]
	s_mov_b64 s[20:21], s[6:7]
	s_and_saveexec_b64 s[22:23], vcc
	s_cbranch_execz .LBB18_529
; %bb.262:
	v_mul_lo_u32 v0, v7, s3
	v_mov_b32_e32 v1, s11
	s_and_b32 s26, 0xffff, s42
	s_cmp_lt_i32 s26, 11
	s_waitcnt vmcnt(0)
	v_ashrrev_i32_e32 v2, 31, v0
	v_add_co_u32_e32 v0, vcc, s10, v0
	v_addc_co_u32_e32 v1, vcc, v1, v2, vcc
	s_cbranch_scc1 .LBB18_272
; %bb.263:
	s_cmp_gt_i32 s26, 25
	s_cbranch_scc0 .LBB18_289
; %bb.264:
	s_cmp_gt_i32 s26, 28
	s_cbranch_scc0 .LBB18_291
	;; [unrolled: 3-line block ×4, first 2 shown]
; %bb.267:
	s_cmp_eq_u32 s26, 46
	s_mov_b64 s[20:21], 0
	s_cbranch_scc0 .LBB18_301
; %bb.268:
	global_load_dword v2, v[0:1], off
	s_mov_b64 s[18:19], 0
	s_waitcnt vmcnt(0)
	v_lshlrev_b32_e32 v2, 16, v2
	s_branch .LBB18_302
.LBB18_269:
	s_or_b64 exec, exec, s[16:17]
	s_mov_b64 s[16:17], 0
	s_and_saveexec_b64 s[18:19], s[14:15]
	s_cbranch_execnz .LBB18_883
.LBB18_270:
	s_or_b64 exec, exec, s[18:19]
	s_and_saveexec_b64 s[14:15], s[20:21]
	s_xor_b64 s[14:15], exec, s[14:15]
	s_cbranch_execz .LBB18_884
.LBB18_271:
	global_load_ubyte v2, v[0:1], off
	s_or_b64 s[0:1], s[0:1], exec
	s_waitcnt vmcnt(0)
	v_cmp_ne_u16_e32 vcc, 0, v2
	v_cndmask_b32_e64 v4, 0, 1.0, vcc
	s_or_b64 exec, exec, s[14:15]
	s_and_saveexec_b64 s[14:15], s[22:23]
	s_cbranch_execz .LBB18_930
	s_branch .LBB18_885
.LBB18_272:
	s_mov_b64 s[0:1], 0
                                        ; implicit-def: $vgpr2
	s_mov_b64 s[18:19], s[14:15]
	s_cbranch_execnz .LBB18_479
.LBB18_273:
	s_andn2_b64 vcc, exec, s[0:1]
	s_cbranch_vccnz .LBB18_527
.LBB18_274:
	s_waitcnt vmcnt(0)
	v_cmp_neq_f32_e32 vcc, 0, v2
	v_mov_b32_e32 v0, 0x7f800000
	s_and_saveexec_b64 s[20:21], vcc
	s_cbranch_execz .LBB18_282
; %bb.275:
	v_cmp_ngt_f32_e32 vcc, 0, v2
	v_mov_b32_e32 v0, 0x7fc00000
	s_and_saveexec_b64 s[24:25], vcc
	s_cbranch_execz .LBB18_281
; %bb.276:
	v_cmp_ge_f32_e32 vcc, 2.0, v2
                                        ; implicit-def: $vgpr0
	s_and_saveexec_b64 s[0:1], vcc
	s_xor_b64 s[26:27], exec, s[0:1]
	s_cbranch_execz .LBB18_278
; %bb.277:
	v_fma_f32 v0, v2, v2, -2.0
	v_mov_b32_e32 v1, 0x293fd856
	v_fmac_f32_e32 v1, 0x251e770f, v0
	v_mov_b32_e32 v3, 0xa51e770f
	v_fmac_f32_e32 v3, v0, v1
	v_add_f32_e32 v3, 0x2d3612e2, v3
	v_fma_f32 v1, v0, v3, -v1
	v_add_f32_e32 v1, 0x3102e09b, v1
	v_fma_f32 v3, v0, v1, -v3
	;; [unrolled: 2-line block ×7, first 2 shown]
	v_mul_f32_e32 v3, 0.5, v2
	s_mov_b32 s0, 0x800000
	v_cmp_gt_f32_e32 vcc, s0, v3
	v_cndmask_b32_e64 v4, 0, 32, vcc
	v_ldexp_f32 v3, v3, v4
	v_log_f32_e32 v3, v3
	v_add_f32_e32 v0, 0xbf090b37, v0
	v_sub_f32_e32 v0, v0, v1
	s_mov_b32 s0, 0x3f317217
	v_mul_f32_e32 v1, 0x3f317217, v3
	v_fma_f32 v1, v3, s0, -v1
	v_fmac_f32_e32 v1, 0x3377d1cf, v3
	s_mov_b32 s0, 0x7f800000
	v_fmac_f32_e32 v1, 0x3f317217, v3
	v_cmp_lt_f32_e64 s[0:1], |v3|, s0
	v_cndmask_b32_e64 v1, v3, v1, s[0:1]
	v_mul_f32_e32 v3, 0x3fb8aa3b, v2
	s_mov_b32 s0, 0x3fb8aa3b
	v_rndne_f32_e32 v4, v3
	v_sub_f32_e32 v5, v3, v4
	v_fma_f32 v3, v2, s0, -v3
	v_fmac_f32_e32 v3, 0x32a5705f, v2
	v_add_f32_e32 v3, v5, v3
	v_exp_f32_e32 v3, v3
	v_cvt_i32_f32_e32 v4, v4
	v_mov_b32_e32 v5, 0x41b17218
	s_mov_b32 s0, 0xc2ce8ed0
	v_cndmask_b32_e32 v5, 0, v5, vcc
	v_ldexp_f32 v3, v3, v4
	v_cmp_ngt_f32_e32 vcc, s0, v2
	s_mov_b32 s0, 0x42b17218
	v_cndmask_b32_e32 v3, 0, v3, vcc
	v_mov_b32_e32 v4, 0x7f800000
	v_cmp_nlt_f32_e32 vcc, s0, v2
	v_cndmask_b32_e32 v3, v4, v3, vcc
	v_fma_f32 v2, v2, 0.5, -2.0
	v_mov_b32_e32 v4, 0x24199b15
	v_sub_f32_e32 v1, v1, v5
	v_fmac_f32_e32 v4, 0xa2a2e5b9, v2
	v_mov_b32_e32 v5, 0x22a2e5b9
	v_fmac_f32_e32 v5, v2, v4
	v_add_f32_e32 v5, 0xa58c275c, v5
	v_fma_f32 v4, v2, v5, -v4
	v_add_f32_e32 v4, 0x26f736c5, v4
	v_fma_f32 v5, v2, v4, -v5
	;; [unrolled: 2-line block ×27, first 2 shown]
	v_add_f32_e32 v2, 0x3f2d4275, v2
	v_sub_f32_e32 v2, v2, v4
	v_mul_f32_e32 v2, 0.5, v2
	v_mul_f32_e32 v2, v3, v2
	v_mul_f32_e32 v1, v1, v2
	v_fma_f32 v0, v0, 0.5, -v1
	v_mul_f32_e32 v0, v3, v0
                                        ; implicit-def: $vgpr2
.LBB18_278:
	s_andn2_saveexec_b64 s[26:27], s[26:27]
	s_cbranch_execz .LBB18_280
; %bb.279:
	s_mov_b32 s28, 0x41000000
	v_div_scale_f32 v0, s[0:1], v2, v2, s28
	v_div_scale_f32 v1, vcc, s28, v2, s28
	s_mov_b32 s0, 0xf800000
	v_mul_f32_e32 v3, 0x4f800000, v2
	v_cmp_gt_f32_e64 s[0:1], s0, v2
	v_cndmask_b32_e64 v3, v2, v3, s[0:1]
	v_sqrt_f32_e32 v5, v3
	v_add_u32_e32 v9, 1, v5
	v_fma_f32 v11, -v9, v5, v3
	v_rcp_f32_e32 v4, v0
	v_fma_f32 v6, -v0, v4, 1.0
	v_fmac_f32_e32 v4, v6, v4
	v_mul_f32_e32 v6, v1, v4
	v_fma_f32 v8, -v0, v6, v1
	v_fmac_f32_e32 v6, v8, v4
	v_fma_f32 v0, -v0, v6, v1
	v_div_fmas_f32 v0, v0, v4, v6
	v_mov_b32_e32 v1, 0xa397f665
	v_mov_b32_e32 v4, 0xa2c38d2e
	v_add_u32_e32 v8, -1, v5
	v_fma_f32 v10, -v8, v5, v3
	v_cmp_ge_f32_e32 vcc, 0, v10
	v_cndmask_b32_e32 v5, v5, v8, vcc
	v_cmp_lt_f32_e32 vcc, 0, v11
	v_cndmask_b32_e32 v5, v5, v9, vcc
	v_mov_b32_e32 v6, 0x260
	v_mul_f32_e32 v8, 0x37800000, v5
	v_cndmask_b32_e64 v5, v5, v8, s[0:1]
	v_cmp_class_f32_e32 vcc, v3, v6
	v_cndmask_b32_e32 v3, v5, v3, vcc
	v_div_fixup_f32 v0, v0, v2, s28
	v_add_f32_e32 v0, -2.0, v0
	v_fmac_f32_e32 v1, 0x22c38d2e, v0
	v_fmac_f32_e32 v4, v0, v1
	v_add_f32_e32 v2, 0x24704972, v4
	v_fma_f32 v1, v0, v2, -v1
	v_add_f32_e32 v1, 0xa5417ca4, v1
	v_fma_f32 v2, v0, v1, -v2
	;; [unrolled: 2-line block ×22, first 2 shown]
	v_add_f32_e32 v0, 0x401c2ded, v0
	v_sub_f32_e32 v0, v0, v2
	v_mul_f32_e32 v0, 0.5, v0
	v_div_scale_f32 v1, s[0:1], v3, v3, v0
	v_div_scale_f32 v2, vcc, v0, v3, v0
	v_rcp_f32_e32 v4, v1
	v_fma_f32 v5, -v1, v4, 1.0
	v_fmac_f32_e32 v4, v5, v4
	v_mul_f32_e32 v5, v2, v4
	v_fma_f32 v6, -v1, v5, v2
	v_fmac_f32_e32 v5, v6, v4
	v_fma_f32 v1, -v1, v5, v2
	v_div_fmas_f32 v1, v1, v4, v5
	v_div_fixup_f32 v0, v1, v3, v0
.LBB18_280:
	s_or_b64 exec, exec, s[26:27]
.LBB18_281:
	s_or_b64 exec, exec, s[24:25]
.LBB18_282:
	s_or_b64 exec, exec, s[20:21]
	v_mul_lo_u32 v1, v7, s2
	v_mov_b32_e32 v3, s9
	s_and_b32 s28, s33, 0xff
	s_cmp_lt_i32 s28, 11
	v_ashrrev_i32_e32 v4, 31, v1
	v_add_co_u32_e32 v2, vcc, s8, v1
	v_addc_co_u32_e32 v3, vcc, v3, v4, vcc
	s_cbranch_scc1 .LBB18_290
; %bb.283:
	s_and_b32 s29, 0xffff, s28
	s_cmp_gt_i32 s29, 25
	s_cbranch_scc0 .LBB18_292
; %bb.284:
	s_cmp_gt_i32 s29, 28
	s_cbranch_scc0 .LBB18_294
; %bb.285:
	;; [unrolled: 3-line block ×4, first 2 shown]
	s_mov_b64 s[24:25], 0
	s_mov_b64 s[0:1], -1
	s_cmp_eq_u32 s29, 46
	s_mov_b64 s[20:21], 0
	s_cbranch_scc0 .LBB18_306
; %bb.288:
	v_bfe_u32 v1, v0, 16, 1
	s_movk_i32 s0, 0x7fff
	v_add3_u32 v1, v0, v1, s0
	v_cmp_o_f32_e32 vcc, v0, v0
	v_mov_b32_e32 v4, 0x7fc0
	v_cndmask_b32_sdwa v1, v4, v1, vcc dst_sel:DWORD dst_unused:UNUSED_PAD src0_sel:DWORD src1_sel:WORD_1
	global_store_dword v[2:3], v1, off
	s_mov_b64 s[20:21], -1
	s_mov_b64 s[0:1], 0
	s_branch .LBB18_306
.LBB18_289:
	s_mov_b64 s[20:21], -1
	s_mov_b64 s[0:1], 0
	s_mov_b64 s[18:19], s[14:15]
                                        ; implicit-def: $vgpr2
	s_branch .LBB18_443
.LBB18_290:
	s_mov_b64 s[24:25], -1
	s_mov_b64 s[20:21], 0
	s_mov_b64 s[0:1], s[6:7]
	s_branch .LBB18_375
.LBB18_291:
	s_mov_b64 s[20:21], -1
	s_mov_b64 s[0:1], 0
	s_mov_b64 s[18:19], s[14:15]
                                        ; implicit-def: $vgpr2
	s_branch .LBB18_424
.LBB18_292:
	s_mov_b64 s[24:25], -1
	s_mov_b64 s[20:21], 0
	s_mov_b64 s[0:1], s[6:7]
	s_branch .LBB18_333
.LBB18_293:
	s_mov_b64 s[20:21], -1
	s_mov_b64 s[0:1], 0
	s_mov_b64 s[18:19], s[14:15]
                                        ; implicit-def: $vgpr2
	s_branch .LBB18_419
.LBB18_294:
	s_mov_b64 s[24:25], -1
	s_mov_b64 s[20:21], 0
	s_mov_b64 s[0:1], s[6:7]
	s_branch .LBB18_316
.LBB18_295:
	s_andn2_saveexec_b64 s[22:23], s[22:23]
	s_cbranch_execz .LBB18_63
.LBB18_296:
	s_mov_b32 s26, 0x46000000
	v_add_f32_e64 v1, |v0|, s26
	v_and_b32_e32 v1, 0xff, v1
	v_cmp_ne_u32_e32 vcc, 0, v1
	s_andn2_b64 s[18:19], s[18:19], exec
	s_and_b64 s[26:27], vcc, exec
	s_or_b64 s[18:19], s[18:19], s[26:27]
	s_or_b64 exec, exec, s[22:23]
	v_mov_b32_e32 v4, 0
	s_and_saveexec_b64 s[22:23], s[18:19]
	s_cbranch_execnz .LBB18_64
	s_branch .LBB18_65
.LBB18_297:
	s_mov_b64 s[20:21], -1
	s_mov_b64 s[0:1], 0
	s_mov_b64 s[18:19], s[14:15]
                                        ; implicit-def: $vgpr2
	s_branch .LBB18_302
.LBB18_298:
	s_mov_b64 s[24:25], -1
	s_mov_b64 s[20:21], 0
	s_mov_b64 s[0:1], s[6:7]
	s_branch .LBB18_312
.LBB18_299:
	s_andn2_saveexec_b64 s[22:23], s[22:23]
	s_cbranch_execz .LBB18_76
.LBB18_300:
	s_mov_b32 s26, 0x42800000
	v_add_f32_e64 v1, |v0|, s26
	v_and_b32_e32 v1, 0xff, v1
	v_cmp_ne_u32_e32 vcc, 0, v1
	s_andn2_b64 s[18:19], s[18:19], exec
	s_and_b64 s[26:27], vcc, exec
	s_or_b64 s[18:19], s[18:19], s[26:27]
	s_or_b64 exec, exec, s[22:23]
	v_mov_b32_e32 v4, 0
	s_and_saveexec_b64 s[22:23], s[18:19]
	s_cbranch_execnz .LBB18_77
	s_branch .LBB18_78
.LBB18_301:
	s_mov_b64 s[18:19], -1
                                        ; implicit-def: $vgpr2
	s_mov_b64 s[0:1], 0
.LBB18_302:
	s_and_b64 vcc, exec, s[20:21]
	s_cbranch_vccz .LBB18_418
; %bb.303:
	s_cmp_eq_u32 s26, 44
	s_cbranch_scc0 .LBB18_417
; %bb.304:
	global_load_ubyte v2, v[0:1], off
	s_movk_i32 s18, 0xff
	v_mov_b32_e32 v3, 0x7f800001
	v_mov_b32_e32 v4, 0x400000
	s_mov_b64 s[0:1], -1
	s_waitcnt vmcnt(0)
	v_lshlrev_b32_e32 v5, 23, v2
	v_cmp_ne_u32_e32 vcc, s18, v2
	v_cndmask_b32_e32 v3, v3, v5, vcc
	v_cmp_ne_u32_e32 vcc, 0, v2
	v_cndmask_b32_e32 v2, v4, v3, vcc
	s_mov_b64 s[18:19], 0
	s_branch .LBB18_418
.LBB18_305:
	s_mov_b64 s[24:25], -1
	s_mov_b64 s[20:21], 0
	s_mov_b64 s[0:1], s[6:7]
.LBB18_306:
	s_and_b64 vcc, exec, s[24:25]
	s_cbranch_vccz .LBB18_311
; %bb.307:
	s_cmp_eq_u32 s29, 44
	s_mov_b64 s[0:1], -1
	s_cbranch_scc0 .LBB18_311
; %bb.308:
	v_bfe_u32 v1, v0, 23, 8
	s_movk_i32 s0, 0xff
	v_cmp_ne_u32_e32 vcc, s0, v1
	v_mov_b32_e32 v4, 0xff
	s_and_saveexec_b64 s[20:21], vcc
; %bb.309:
	s_mov_b32 s0, 0x3fffff
	v_and_b32_e32 v5, 0x400000, v0
	v_and_or_b32 v1, v0, s0, v1
	v_cmp_ne_u32_e32 vcc, 0, v5
	v_cmp_ne_u32_e64 s[0:1], 0, v1
	s_and_b64 s[0:1], vcc, s[0:1]
	v_lshrrev_b32_e32 v4, 23, v0
	v_cndmask_b32_e64 v1, 0, 1, s[0:1]
	v_add_u32_e32 v4, v4, v1
; %bb.310:
	s_or_b64 exec, exec, s[20:21]
	s_mov_b64 s[20:21], -1
	s_mov_b64 s[0:1], 0
	global_store_byte v[2:3], v4, off
.LBB18_311:
	s_mov_b64 s[24:25], 0
.LBB18_312:
	s_and_b64 vcc, exec, s[24:25]
	s_cbranch_vccz .LBB18_315
; %bb.313:
	s_cmp_eq_u32 s29, 29
	s_mov_b64 s[0:1], -1
	s_cbranch_scc0 .LBB18_315
; %bb.314:
	v_trunc_f32_e32 v1, v0
	v_mul_f32_e32 v4, 0x2f800000, v1
	v_floor_f32_e32 v4, v4
	v_fmac_f32_e32 v1, 0xcf800000, v4
	v_cvt_u32_f32_e32 v5, v4
	v_cvt_u32_f32_e32 v4, v1
	s_mov_b64 s[20:21], -1
	s_mov_b64 s[0:1], 0
	s_mov_b64 s[24:25], 0
	global_store_dwordx2 v[2:3], v[4:5], off
	s_branch .LBB18_316
.LBB18_315:
	s_mov_b64 s[24:25], 0
.LBB18_316:
	s_and_b64 vcc, exec, s[24:25]
	s_cbranch_vccz .LBB18_332
; %bb.317:
	s_cmp_lt_i32 s29, 27
	s_mov_b64 s[20:21], -1
	s_cbranch_scc1 .LBB18_323
; %bb.318:
	v_cvt_u32_f32_e32 v1, v0
	s_cmp_gt_i32 s29, 27
	s_cbranch_scc0 .LBB18_320
; %bb.319:
	s_mov_b64 s[20:21], 0
	global_store_dword v[2:3], v1, off
.LBB18_320:
	s_andn2_b64 vcc, exec, s[20:21]
	s_cbranch_vccnz .LBB18_322
; %bb.321:
	global_store_short v[2:3], v1, off
.LBB18_322:
	s_mov_b64 s[20:21], 0
.LBB18_323:
	s_andn2_b64 vcc, exec, s[20:21]
	s_cbranch_vccnz .LBB18_331
; %bb.324:
	v_and_b32_e32 v1, 0x7fffffff, v0
	s_mov_b32 s20, 0x43800000
	v_cmp_gt_u32_e32 vcc, s20, v1
	v_mov_b32_e32 v4, 0x80
	s_and_saveexec_b64 s[20:21], vcc
	s_cbranch_execz .LBB18_330
; %bb.325:
	s_mov_b32 s24, 0x3bffffff
	v_cmp_lt_u32_e32 vcc, s24, v1
	s_mov_b64 s[24:25], 0
                                        ; implicit-def: $vgpr1
	s_and_saveexec_b64 s[26:27], vcc
	s_xor_b64 s[26:27], exec, s[26:27]
	s_cbranch_execz .LBB18_542
; %bb.326:
	v_bfe_u32 v1, v0, 20, 1
	s_mov_b32 s30, 0x487ffff
	v_add3_u32 v1, v0, v1, s30
	s_mov_b64 s[24:25], exec
	v_lshrrev_b32_e32 v1, 20, v1
	s_andn2_saveexec_b64 s[26:27], s[26:27]
	s_cbranch_execnz .LBB18_543
.LBB18_327:
	s_or_b64 exec, exec, s[26:27]
	v_mov_b32_e32 v4, 0
	s_and_saveexec_b64 s[26:27], s[24:25]
.LBB18_328:
	v_lshrrev_b32_e32 v4, 24, v0
	s_movk_i32 s24, 0x80
	v_and_or_b32 v4, v4, s24, v1
.LBB18_329:
	s_or_b64 exec, exec, s[26:27]
.LBB18_330:
	s_or_b64 exec, exec, s[20:21]
	global_store_byte v[2:3], v4, off
.LBB18_331:
	s_mov_b64 s[20:21], -1
.LBB18_332:
	s_mov_b64 s[24:25], 0
.LBB18_333:
	s_and_b64 vcc, exec, s[24:25]
	s_cbranch_vccz .LBB18_374
; %bb.334:
	s_cmp_gt_i32 s29, 22
	s_mov_b64 s[24:25], -1
	s_cbranch_scc0 .LBB18_366
; %bb.335:
	s_cmp_lt_i32 s29, 24
	s_mov_b64 s[20:21], -1
	s_cbranch_scc1 .LBB18_355
; %bb.336:
	s_cmp_gt_i32 s29, 24
	s_cbranch_scc0 .LBB18_344
; %bb.337:
	v_and_b32_e32 v1, 0x7fffffff, v0
	s_mov_b32 s20, 0x47800000
	v_cmp_gt_u32_e32 vcc, s20, v1
	v_mov_b32_e32 v4, 0x80
	s_and_saveexec_b64 s[20:21], vcc
	s_cbranch_execz .LBB18_343
; %bb.338:
	s_mov_b32 s24, 0x37ffffff
	v_cmp_lt_u32_e32 vcc, s24, v1
	s_mov_b64 s[24:25], 0
                                        ; implicit-def: $vgpr1
	s_and_saveexec_b64 s[26:27], vcc
	s_xor_b64 s[26:27], exec, s[26:27]
	s_cbranch_execz .LBB18_545
; %bb.339:
	v_bfe_u32 v1, v0, 21, 1
	s_mov_b32 s30, 0x88fffff
	v_add3_u32 v1, v0, v1, s30
	s_mov_b64 s[24:25], exec
	v_lshrrev_b32_e32 v1, 21, v1
	s_andn2_saveexec_b64 s[26:27], s[26:27]
	s_cbranch_execnz .LBB18_546
.LBB18_340:
	s_or_b64 exec, exec, s[26:27]
	v_mov_b32_e32 v4, 0
	s_and_saveexec_b64 s[26:27], s[24:25]
.LBB18_341:
	v_lshrrev_b32_e32 v4, 24, v0
	s_movk_i32 s24, 0x80
	v_and_or_b32 v4, v4, s24, v1
.LBB18_342:
	s_or_b64 exec, exec, s[26:27]
.LBB18_343:
	s_or_b64 exec, exec, s[20:21]
	s_mov_b64 s[20:21], 0
	global_store_byte v[2:3], v4, off
.LBB18_344:
	s_and_b64 vcc, exec, s[20:21]
	s_cbranch_vccz .LBB18_354
; %bb.345:
	v_and_b32_e32 v4, 0x7fffffff, v0
	s_mov_b32 s20, 0x43f00000
	v_cmp_gt_u32_e32 vcc, s20, v4
                                        ; implicit-def: $vgpr1
	s_and_saveexec_b64 s[20:21], vcc
	s_xor_b64 s[20:21], exec, s[20:21]
	s_cbranch_execz .LBB18_351
; %bb.346:
	s_mov_b32 s24, 0x3c7fffff
	v_cmp_lt_u32_e32 vcc, s24, v4
                                        ; implicit-def: $vgpr1
	s_and_saveexec_b64 s[24:25], vcc
	s_xor_b64 s[24:25], exec, s[24:25]
; %bb.347:
	v_bfe_u32 v1, v0, 20, 1
	s_mov_b32 s26, 0x407ffff
	v_add3_u32 v1, v0, v1, s26
	v_lshrrev_b32_e32 v4, 20, v1
	v_and_b32_e32 v1, 0xff00000, v1
	s_mov_b32 s26, 0x7f00000
	v_mov_b32_e32 v5, 0x7e
	v_cmp_ne_u32_e32 vcc, s26, v1
	v_cndmask_b32_e32 v1, v5, v4, vcc
; %bb.348:
	s_andn2_saveexec_b64 s[24:25], s[24:25]
; %bb.349:
	s_mov_b32 s26, 0x46800000
	v_add_f32_e64 v1, |v0|, s26
; %bb.350:
	s_or_b64 exec, exec, s[24:25]
                                        ; implicit-def: $vgpr4
.LBB18_351:
	s_andn2_saveexec_b64 s[20:21], s[20:21]
; %bb.352:
	s_mov_b32 s24, 0x7f800000
	v_mov_b32_e32 v1, 0x7e
	v_mov_b32_e32 v5, 0x7f
	v_cmp_lt_u32_e32 vcc, s24, v4
	v_cndmask_b32_e32 v1, v1, v5, vcc
; %bb.353:
	s_or_b64 exec, exec, s[20:21]
	v_lshrrev_b32_e32 v4, 24, v0
	s_movk_i32 s20, 0x80
	v_and_or_b32 v1, v4, s20, v1
	global_store_byte v[2:3], v1, off
.LBB18_354:
	s_mov_b64 s[20:21], 0
.LBB18_355:
	s_andn2_b64 vcc, exec, s[20:21]
	s_cbranch_vccnz .LBB18_365
; %bb.356:
	v_and_b32_e32 v4, 0x7fffffff, v0
	s_mov_b32 s20, 0x47800000
	v_cmp_gt_u32_e32 vcc, s20, v4
                                        ; implicit-def: $vgpr1
	s_and_saveexec_b64 s[20:21], vcc
	s_xor_b64 s[20:21], exec, s[20:21]
	s_cbranch_execz .LBB18_362
; %bb.357:
	s_mov_b32 s24, 0x387fffff
	v_cmp_lt_u32_e32 vcc, s24, v4
                                        ; implicit-def: $vgpr1
	s_and_saveexec_b64 s[24:25], vcc
	s_xor_b64 s[24:25], exec, s[24:25]
; %bb.358:
	v_bfe_u32 v1, v0, 21, 1
	s_mov_b32 s26, 0x80fffff
	v_add3_u32 v1, v0, v1, s26
	v_lshrrev_b32_e32 v1, 21, v1
; %bb.359:
	s_andn2_saveexec_b64 s[24:25], s[24:25]
; %bb.360:
	s_mov_b32 s26, 0x43000000
	v_add_f32_e64 v1, |v0|, s26
; %bb.361:
	s_or_b64 exec, exec, s[24:25]
                                        ; implicit-def: $vgpr4
.LBB18_362:
	s_andn2_saveexec_b64 s[20:21], s[20:21]
; %bb.363:
	s_mov_b32 s24, 0x7f800000
	v_mov_b32_e32 v1, 0x7c
	v_mov_b32_e32 v5, 0x7f
	v_cmp_lt_u32_e32 vcc, s24, v4
	v_cndmask_b32_e32 v1, v1, v5, vcc
; %bb.364:
	s_or_b64 exec, exec, s[20:21]
	v_lshrrev_b32_e32 v4, 24, v0
	s_movk_i32 s20, 0x80
	v_and_or_b32 v1, v4, s20, v1
	global_store_byte v[2:3], v1, off
.LBB18_365:
	s_mov_b64 s[24:25], 0
	s_mov_b64 s[20:21], -1
.LBB18_366:
	s_andn2_b64 vcc, exec, s[24:25]
	s_cbranch_vccnz .LBB18_374
; %bb.367:
	s_cmp_gt_i32 s29, 14
	s_mov_b64 s[24:25], -1
	s_cbranch_scc0 .LBB18_371
; %bb.368:
	s_cmp_eq_u32 s29, 15
	s_mov_b64 s[0:1], -1
	s_cbranch_scc0 .LBB18_370
; %bb.369:
	v_bfe_u32 v1, v0, 16, 1
	s_movk_i32 s0, 0x7fff
	v_add3_u32 v1, v0, v1, s0
	v_cmp_o_f32_e32 vcc, v0, v0
	v_mov_b32_e32 v4, 0x7fc0
	v_cndmask_b32_sdwa v1, v4, v1, vcc dst_sel:DWORD dst_unused:UNUSED_PAD src0_sel:DWORD src1_sel:WORD_1
	global_store_short v[2:3], v1, off
	s_mov_b64 s[20:21], -1
	s_mov_b64 s[0:1], 0
.LBB18_370:
	s_mov_b64 s[24:25], 0
.LBB18_371:
	s_and_b64 vcc, exec, s[24:25]
	s_cbranch_vccz .LBB18_374
; %bb.372:
	s_cmp_eq_u32 s29, 11
	s_mov_b64 s[0:1], -1
	s_cbranch_scc0 .LBB18_374
; %bb.373:
	v_cmp_neq_f32_e32 vcc, 0, v0
	v_cndmask_b32_e64 v1, 0, 1, vcc
	s_mov_b64 s[20:21], -1
	s_mov_b64 s[0:1], 0
	global_store_byte v[2:3], v1, off
.LBB18_374:
	s_mov_b64 s[24:25], 0
.LBB18_375:
	s_and_b64 vcc, exec, s[24:25]
	s_cbranch_vccz .LBB18_414
; %bb.376:
	s_and_b32 s24, 0xffff, s28
	s_cmp_lt_i32 s24, 5
	s_mov_b64 s[20:21], -1
	s_cbranch_scc1 .LBB18_397
; %bb.377:
	s_cmp_lt_i32 s24, 8
	s_cbranch_scc1 .LBB18_387
; %bb.378:
	s_cmp_lt_i32 s24, 9
	s_cbranch_scc1 .LBB18_384
; %bb.379:
	s_cmp_gt_i32 s24, 9
	s_cbranch_scc0 .LBB18_381
; %bb.380:
	v_cvt_f64_f32_e32 v[8:9], v0
	v_mov_b32_e32 v10, 0
	v_mov_b32_e32 v11, v10
	s_mov_b64 s[20:21], 0
	global_store_dwordx4 v[2:3], v[8:11], off
.LBB18_381:
	s_andn2_b64 vcc, exec, s[20:21]
	s_cbranch_vccnz .LBB18_383
; %bb.382:
	v_mov_b32_e32 v1, 0
	global_store_dwordx2 v[2:3], v[0:1], off
.LBB18_383:
	s_mov_b64 s[20:21], 0
.LBB18_384:
	s_andn2_b64 vcc, exec, s[20:21]
	s_cbranch_vccnz .LBB18_386
; %bb.385:
	v_cvt_f16_f32_e32 v1, v0
	global_store_dword v[2:3], v1, off
.LBB18_386:
	s_mov_b64 s[20:21], 0
.LBB18_387:
	s_andn2_b64 vcc, exec, s[20:21]
	s_cbranch_vccnz .LBB18_396
; %bb.388:
	s_cmp_lt_i32 s24, 6
	s_mov_b64 s[20:21], -1
	s_cbranch_scc1 .LBB18_394
; %bb.389:
	s_cmp_gt_i32 s24, 6
	s_cbranch_scc0 .LBB18_391
; %bb.390:
	v_cvt_f64_f32_e32 v[4:5], v0
	s_mov_b64 s[20:21], 0
	global_store_dwordx2 v[2:3], v[4:5], off
.LBB18_391:
	s_andn2_b64 vcc, exec, s[20:21]
	s_cbranch_vccnz .LBB18_393
; %bb.392:
	global_store_dword v[2:3], v0, off
.LBB18_393:
	s_mov_b64 s[20:21], 0
.LBB18_394:
	s_andn2_b64 vcc, exec, s[20:21]
	s_cbranch_vccnz .LBB18_396
; %bb.395:
	v_cvt_f16_f32_e32 v1, v0
	global_store_short v[2:3], v1, off
.LBB18_396:
	s_mov_b64 s[20:21], 0
.LBB18_397:
	s_andn2_b64 vcc, exec, s[20:21]
	s_cbranch_vccnz .LBB18_413
; %bb.398:
	s_cmp_lt_i32 s24, 2
	s_mov_b64 s[20:21], -1
	s_cbranch_scc1 .LBB18_408
; %bb.399:
	s_cmp_lt_i32 s24, 3
	s_cbranch_scc1 .LBB18_405
; %bb.400:
	s_cmp_gt_i32 s24, 3
	s_cbranch_scc0 .LBB18_402
; %bb.401:
	v_trunc_f32_e32 v1, v0
	s_mov_b32 s20, 0x2f800000
	v_mul_f32_e64 v4, |v1|, s20
	v_floor_f32_e32 v4, v4
	s_mov_b32 s20, 0xcf800000
	v_cvt_u32_f32_e32 v5, v4
	v_fma_f32 v4, v4, s20, |v1|
	v_cvt_u32_f32_e32 v4, v4
	v_ashrrev_i32_e32 v1, 31, v1
	v_xor_b32_e32 v5, v5, v1
	s_mov_b64 s[20:21], 0
	v_xor_b32_e32 v4, v4, v1
	v_sub_co_u32_e32 v4, vcc, v4, v1
	v_subb_co_u32_e32 v5, vcc, v5, v1, vcc
	global_store_dwordx2 v[2:3], v[4:5], off
.LBB18_402:
	s_andn2_b64 vcc, exec, s[20:21]
	s_cbranch_vccnz .LBB18_404
; %bb.403:
	v_cvt_i32_f32_e32 v1, v0
	global_store_dword v[2:3], v1, off
.LBB18_404:
	s_mov_b64 s[20:21], 0
.LBB18_405:
	s_andn2_b64 vcc, exec, s[20:21]
	s_cbranch_vccnz .LBB18_407
; %bb.406:
	v_cvt_i32_f32_e32 v1, v0
	global_store_short v[2:3], v1, off
.LBB18_407:
	s_mov_b64 s[20:21], 0
.LBB18_408:
	s_andn2_b64 vcc, exec, s[20:21]
	s_cbranch_vccnz .LBB18_413
; %bb.409:
	s_cmp_gt_i32 s24, 0
	s_mov_b64 s[20:21], -1
	s_cbranch_scc0 .LBB18_411
; %bb.410:
	v_cvt_i32_f32_e32 v1, v0
	s_mov_b64 s[20:21], 0
	global_store_byte v[2:3], v1, off
.LBB18_411:
	s_andn2_b64 vcc, exec, s[20:21]
	s_cbranch_vccnz .LBB18_413
; %bb.412:
	v_trunc_f32_e32 v0, v0
	s_mov_b32 s20, 0x2f800000
	v_mul_f32_e64 v1, |v0|, s20
	v_floor_f32_e32 v1, v1
	s_mov_b32 s20, 0xcf800000
	v_fma_f32 v1, v1, s20, |v0|
	v_cvt_u32_f32_e32 v1, v1
	v_ashrrev_i32_e32 v0, 31, v0
	v_xor_b32_e32 v1, v1, v0
	v_sub_u32_e32 v0, v1, v0
	global_store_byte v[2:3], v0, off
.LBB18_413:
	s_mov_b64 s[20:21], -1
.LBB18_414:
	s_andn2_b64 vcc, exec, s[20:21]
	s_cbranch_vccnz .LBB18_416
; %bb.415:
	v_add_u32_e32 v7, 0x80, v7
	s_mov_b64 s[24:25], -1
	s_branch .LBB18_528
.LBB18_416:
	s_mov_b64 s[24:25], 0
                                        ; implicit-def: $vgpr7
	s_branch .LBB18_528
.LBB18_417:
	s_mov_b64 s[18:19], -1
                                        ; implicit-def: $vgpr2
.LBB18_418:
	s_mov_b64 s[20:21], 0
.LBB18_419:
	s_and_b64 vcc, exec, s[20:21]
	s_cbranch_vccz .LBB18_423
; %bb.420:
	s_cmp_eq_u32 s26, 29
	s_cbranch_scc0 .LBB18_422
; %bb.421:
	global_load_dwordx2 v[2:3], v[0:1], off
	s_mov_b64 s[0:1], -1
	s_mov_b64 s[18:19], 0
	s_mov_b64 s[20:21], 0
	s_waitcnt vmcnt(0)
	v_ffbh_u32_e32 v4, v3
	v_min_u32_e32 v4, 32, v4
	v_lshlrev_b64 v[2:3], v4, v[2:3]
	v_min_u32_e32 v2, 1, v2
	v_or_b32_e32 v2, v3, v2
	v_cvt_f32_u32_e32 v2, v2
	v_sub_u32_e32 v3, 32, v4
	v_ldexp_f32 v2, v2, v3
	s_branch .LBB18_424
.LBB18_422:
	s_mov_b64 s[18:19], -1
                                        ; implicit-def: $vgpr2
.LBB18_423:
	s_mov_b64 s[20:21], 0
.LBB18_424:
	s_and_b64 vcc, exec, s[20:21]
	s_cbranch_vccz .LBB18_442
; %bb.425:
	s_cmp_lt_i32 s26, 27
	s_cbranch_scc1 .LBB18_428
; %bb.426:
	s_cmp_gt_i32 s26, 27
	s_cbranch_scc0 .LBB18_429
; %bb.427:
	global_load_dword v2, v[0:1], off
	s_mov_b64 s[0:1], 0
	s_waitcnt vmcnt(0)
	v_cvt_f32_u32_e32 v2, v2
	s_branch .LBB18_430
.LBB18_428:
	s_mov_b64 s[0:1], -1
                                        ; implicit-def: $vgpr2
	s_branch .LBB18_433
.LBB18_429:
	s_mov_b64 s[0:1], -1
                                        ; implicit-def: $vgpr2
.LBB18_430:
	s_andn2_b64 vcc, exec, s[0:1]
	s_cbranch_vccnz .LBB18_432
; %bb.431:
	global_load_ushort v2, v[0:1], off
	s_waitcnt vmcnt(0)
	v_cvt_f32_u32_e32 v2, v2
.LBB18_432:
	s_mov_b64 s[0:1], 0
.LBB18_433:
	s_andn2_b64 vcc, exec, s[0:1]
	s_cbranch_vccnz .LBB18_441
; %bb.434:
	global_load_ubyte v3, v[0:1], off
	s_movk_i32 s0, 0x7f
	s_waitcnt vmcnt(0)
	v_cmp_lt_i16_e32 vcc, s0, v3
	s_mov_b64 s[0:1], 0
	s_and_saveexec_b64 s[20:21], vcc
	s_xor_b64 s[20:21], exec, s[20:21]
	s_cbranch_execz .LBB18_455
; %bb.435:
	s_movk_i32 s0, 0x80
	v_cmp_eq_u16_e32 vcc, s0, v3
	s_mov_b64 s[0:1], -1
	s_and_saveexec_b64 s[24:25], vcc
; %bb.436:
	s_xor_b64 s[0:1], exec, -1
; %bb.437:
	s_or_b64 exec, exec, s[24:25]
	s_and_b64 s[0:1], s[0:1], exec
	s_or_saveexec_b64 s[20:21], s[20:21]
	v_mov_b32_e32 v2, 0x7f800001
	s_xor_b64 exec, exec, s[20:21]
	s_cbranch_execnz .LBB18_456
.LBB18_438:
	s_or_b64 exec, exec, s[20:21]
	s_and_saveexec_b64 s[20:21], s[0:1]
	s_cbranch_execz .LBB18_440
.LBB18_439:
	v_lshlrev_b32_e32 v2, 24, v3
	v_and_b32_e32 v3, 0xffff, v3
	v_and_b32_e32 v4, 7, v3
	v_ffbh_u32_e32 v6, v4
	v_min_u32_e32 v6, 32, v6
	v_subrev_u32_e32 v8, 28, v6
	v_bfe_u32 v5, v3, 3, 4
	v_lshlrev_b32_e32 v3, v8, v3
	v_sub_u32_e32 v6, 29, v6
	v_and_b32_e32 v3, 7, v3
	v_cmp_eq_u32_e32 vcc, 0, v5
	v_cndmask_b32_e32 v5, v5, v6, vcc
	v_cndmask_b32_e32 v3, v4, v3, vcc
	v_mov_b32_e32 v4, 0x3b800000
	v_lshlrev_b32_e32 v3, 20, v3
	v_and_b32_e32 v2, 0x80000000, v2
	v_lshl_add_u32 v4, v5, 23, v4
	v_or3_b32 v2, v2, v4, v3
.LBB18_440:
	s_or_b64 exec, exec, s[20:21]
.LBB18_441:
	s_mov_b64 s[0:1], -1
.LBB18_442:
	s_mov_b64 s[20:21], 0
.LBB18_443:
	s_and_b64 vcc, exec, s[20:21]
	s_cbranch_vccz .LBB18_478
; %bb.444:
	s_cmp_gt_i32 s26, 22
	s_cbranch_scc0 .LBB18_454
; %bb.445:
	s_cmp_lt_i32 s26, 24
	s_cbranch_scc1 .LBB18_457
; %bb.446:
	s_cmp_gt_i32 s26, 24
	s_cbranch_scc0 .LBB18_458
; %bb.447:
	global_load_ubyte v3, v[0:1], off
	s_movk_i32 s0, 0x7f
	s_waitcnt vmcnt(0)
	v_cmp_lt_i16_e32 vcc, s0, v3
	s_mov_b64 s[0:1], 0
	s_and_saveexec_b64 s[20:21], vcc
	s_xor_b64 s[20:21], exec, s[20:21]
	s_cbranch_execz .LBB18_470
; %bb.448:
	s_movk_i32 s0, 0x80
	v_cmp_eq_u16_e32 vcc, s0, v3
	s_mov_b64 s[0:1], -1
	s_and_saveexec_b64 s[24:25], vcc
; %bb.449:
	s_xor_b64 s[0:1], exec, -1
; %bb.450:
	s_or_b64 exec, exec, s[24:25]
	s_and_b64 s[0:1], s[0:1], exec
	s_or_saveexec_b64 s[20:21], s[20:21]
	v_mov_b32_e32 v2, 0x7f800001
	s_xor_b64 exec, exec, s[20:21]
	s_cbranch_execnz .LBB18_471
.LBB18_451:
	s_or_b64 exec, exec, s[20:21]
	s_and_saveexec_b64 s[20:21], s[0:1]
	s_cbranch_execz .LBB18_453
.LBB18_452:
	v_lshlrev_b32_e32 v2, 24, v3
	v_and_b32_e32 v3, 0xffff, v3
	v_and_b32_e32 v4, 3, v3
	v_ffbh_u32_e32 v6, v4
	v_min_u32_e32 v6, 32, v6
	v_subrev_u32_e32 v8, 29, v6
	v_bfe_u32 v5, v3, 2, 5
	v_lshlrev_b32_e32 v3, v8, v3
	v_sub_u32_e32 v6, 30, v6
	v_and_b32_e32 v3, 3, v3
	v_cmp_eq_u32_e32 vcc, 0, v5
	v_cndmask_b32_e32 v5, v5, v6, vcc
	v_cndmask_b32_e32 v3, v4, v3, vcc
	v_mov_b32_e32 v4, 0x37800000
	v_lshlrev_b32_e32 v3, 21, v3
	v_and_b32_e32 v2, 0x80000000, v2
	v_lshl_add_u32 v4, v5, 23, v4
	v_or3_b32 v2, v2, v4, v3
.LBB18_453:
	s_or_b64 exec, exec, s[20:21]
	s_mov_b64 s[0:1], 0
	s_branch .LBB18_459
.LBB18_454:
	s_mov_b64 s[20:21], -1
                                        ; implicit-def: $vgpr2
	s_branch .LBB18_465
.LBB18_455:
	s_or_saveexec_b64 s[20:21], s[20:21]
	v_mov_b32_e32 v2, 0x7f800001
	s_xor_b64 exec, exec, s[20:21]
	s_cbranch_execz .LBB18_438
.LBB18_456:
	v_cmp_ne_u16_e32 vcc, 0, v3
	s_andn2_b64 s[0:1], s[0:1], exec
	s_and_b64 s[24:25], vcc, exec
	v_mov_b32_e32 v2, 0
	s_or_b64 s[0:1], s[0:1], s[24:25]
	s_or_b64 exec, exec, s[20:21]
	s_and_saveexec_b64 s[20:21], s[0:1]
	s_cbranch_execnz .LBB18_439
	s_branch .LBB18_440
.LBB18_457:
	s_mov_b64 s[0:1], -1
                                        ; implicit-def: $vgpr2
	s_branch .LBB18_462
.LBB18_458:
	s_mov_b64 s[0:1], -1
                                        ; implicit-def: $vgpr2
.LBB18_459:
	s_and_b64 vcc, exec, s[0:1]
	s_cbranch_vccz .LBB18_461
; %bb.460:
	global_load_ubyte v2, v[0:1], off
	s_mov_b32 s0, 0x7f800000
	s_waitcnt vmcnt(0)
	v_lshlrev_b32_e32 v2, 24, v2
	v_and_b32_e32 v3, 0x7f000000, v2
	v_ffbh_u32_e32 v4, v3
	v_min_u32_e32 v4, 32, v4
	v_sub_u32_e64 v4, v4, 4 clamp
	v_lshlrev_b32_e32 v6, v4, v3
	v_lshlrev_b32_e32 v4, 23, v4
	v_lshrrev_b32_e32 v6, 4, v6
	v_add_u32_e32 v5, 0x1000000, v3
	v_sub_u32_e32 v4, v6, v4
	v_ashrrev_i32_e32 v5, 8, v5
	v_add_u32_e32 v4, 0x3c000000, v4
	v_and_or_b32 v4, v5, s0, v4
	v_cmp_ne_u32_e32 vcc, 0, v3
	v_cndmask_b32_e32 v3, 0, v4, vcc
	s_brev_b32 s0, 1
	v_and_or_b32 v2, v2, s0, v3
.LBB18_461:
	s_mov_b64 s[0:1], 0
.LBB18_462:
	s_andn2_b64 vcc, exec, s[0:1]
	s_cbranch_vccnz .LBB18_464
; %bb.463:
	global_load_ubyte v2, v[0:1], off
	s_movk_i32 s0, 0x7f00
	s_brev_b32 s1, 16
	s_waitcnt vmcnt(0)
	v_lshlrev_b16_e32 v3, 8, v2
	v_lshlrev_b32_e32 v2, 25, v2
	v_lshrrev_b32_e32 v4, 4, v2
	v_and_or_b32 v5, v3, s0, 0.5
	v_or_b32_e32 v4, 0x70000000, v4
	v_add_f32_e32 v5, -0.5, v5
	v_mul_f32_e32 v4, 0x7800000, v4
	v_cmp_gt_u32_e32 vcc, s1, v2
	v_bfe_i32 v3, v3, 0, 16
	v_cndmask_b32_e32 v2, v4, v5, vcc
	s_brev_b32 s0, 1
	v_and_or_b32 v2, v3, s0, v2
.LBB18_464:
	s_mov_b64 s[20:21], 0
	s_mov_b64 s[0:1], -1
.LBB18_465:
	s_andn2_b64 vcc, exec, s[20:21]
	s_cbranch_vccnz .LBB18_478
; %bb.466:
	s_cmp_gt_i32 s26, 14
	s_cbranch_scc0 .LBB18_469
; %bb.467:
	s_cmp_eq_u32 s26, 15
	s_cbranch_scc0 .LBB18_472
; %bb.468:
	global_load_ushort v2, v[0:1], off
	s_mov_b64 s[0:1], -1
	s_mov_b64 s[18:19], 0
	s_waitcnt vmcnt(0)
	v_lshlrev_b32_e32 v2, 16, v2
	s_branch .LBB18_473
.LBB18_469:
	s_mov_b64 s[20:21], -1
                                        ; implicit-def: $vgpr2
	s_branch .LBB18_474
.LBB18_470:
	s_or_saveexec_b64 s[20:21], s[20:21]
	v_mov_b32_e32 v2, 0x7f800001
	s_xor_b64 exec, exec, s[20:21]
	s_cbranch_execz .LBB18_451
.LBB18_471:
	v_cmp_ne_u16_e32 vcc, 0, v3
	s_andn2_b64 s[0:1], s[0:1], exec
	s_and_b64 s[24:25], vcc, exec
	v_mov_b32_e32 v2, 0
	s_or_b64 s[0:1], s[0:1], s[24:25]
	s_or_b64 exec, exec, s[20:21]
	s_and_saveexec_b64 s[20:21], s[0:1]
	s_cbranch_execnz .LBB18_452
	s_branch .LBB18_453
.LBB18_472:
	s_mov_b64 s[18:19], -1
                                        ; implicit-def: $vgpr2
.LBB18_473:
	s_mov_b64 s[20:21], 0
.LBB18_474:
	s_and_b64 vcc, exec, s[20:21]
	s_cbranch_vccz .LBB18_478
; %bb.475:
	s_cmp_eq_u32 s26, 11
	s_cbranch_scc0 .LBB18_477
; %bb.476:
	global_load_ubyte v2, v[0:1], off
	s_mov_b64 s[0:1], -1
	s_mov_b64 s[18:19], 0
	s_waitcnt vmcnt(0)
	v_cmp_ne_u16_e32 vcc, 0, v2
	v_cndmask_b32_e64 v2, 0, 1.0, vcc
	s_branch .LBB18_478
.LBB18_477:
	s_mov_b64 s[18:19], -1
                                        ; implicit-def: $vgpr2
.LBB18_478:
	s_branch .LBB18_273
.LBB18_479:
	s_cmp_lt_i32 s26, 5
	s_cbranch_scc1 .LBB18_484
; %bb.480:
	s_cmp_lt_i32 s26, 8
	s_cbranch_scc1 .LBB18_485
; %bb.481:
	;; [unrolled: 3-line block ×3, first 2 shown]
	s_cmp_gt_i32 s26, 9
	s_cbranch_scc0 .LBB18_487
; %bb.483:
	global_load_dwordx2 v[2:3], v[0:1], off
	s_mov_b64 s[0:1], 0
	s_waitcnt vmcnt(0)
	v_cvt_f32_f64_e32 v2, v[2:3]
	s_branch .LBB18_488
.LBB18_484:
	s_mov_b64 s[0:1], -1
                                        ; implicit-def: $vgpr2
	s_branch .LBB18_506
.LBB18_485:
	s_mov_b64 s[0:1], -1
                                        ; implicit-def: $vgpr2
	s_branch .LBB18_494
.LBB18_486:
	s_mov_b64 s[0:1], -1
                                        ; implicit-def: $vgpr2
	s_branch .LBB18_491
.LBB18_487:
	s_mov_b64 s[0:1], -1
                                        ; implicit-def: $vgpr2
.LBB18_488:
	s_andn2_b64 vcc, exec, s[0:1]
	s_cbranch_vccnz .LBB18_490
; %bb.489:
	global_load_dword v2, v[0:1], off
.LBB18_490:
	s_mov_b64 s[0:1], 0
.LBB18_491:
	s_andn2_b64 vcc, exec, s[0:1]
	s_cbranch_vccnz .LBB18_493
; %bb.492:
	global_load_dword v2, v[0:1], off
	s_waitcnt vmcnt(0)
	v_cvt_f32_f16_e32 v2, v2
.LBB18_493:
	s_mov_b64 s[0:1], 0
.LBB18_494:
	s_andn2_b64 vcc, exec, s[0:1]
	s_cbranch_vccnz .LBB18_505
; %bb.495:
	s_cmp_lt_i32 s26, 6
	s_cbranch_scc1 .LBB18_498
; %bb.496:
	s_cmp_gt_i32 s26, 6
	s_cbranch_scc0 .LBB18_499
; %bb.497:
	global_load_dwordx2 v[2:3], v[0:1], off
	s_mov_b64 s[0:1], 0
	s_waitcnt vmcnt(0)
	v_cvt_f32_f64_e32 v2, v[2:3]
	s_branch .LBB18_500
.LBB18_498:
	s_mov_b64 s[0:1], -1
                                        ; implicit-def: $vgpr2
	s_branch .LBB18_503
.LBB18_499:
	s_mov_b64 s[0:1], -1
                                        ; implicit-def: $vgpr2
.LBB18_500:
	s_andn2_b64 vcc, exec, s[0:1]
	s_cbranch_vccnz .LBB18_502
; %bb.501:
	global_load_dword v2, v[0:1], off
.LBB18_502:
	s_mov_b64 s[0:1], 0
.LBB18_503:
	s_andn2_b64 vcc, exec, s[0:1]
	s_cbranch_vccnz .LBB18_505
; %bb.504:
	global_load_ushort v2, v[0:1], off
	s_waitcnt vmcnt(0)
	v_cvt_f32_f16_e32 v2, v2
.LBB18_505:
	s_mov_b64 s[0:1], 0
.LBB18_506:
	s_andn2_b64 vcc, exec, s[0:1]
	s_cbranch_vccnz .LBB18_526
; %bb.507:
	s_cmp_lt_i32 s26, 2
	s_cbranch_scc1 .LBB18_511
; %bb.508:
	s_cmp_lt_i32 s26, 3
	s_cbranch_scc1 .LBB18_512
; %bb.509:
	s_cmp_gt_i32 s26, 3
	s_cbranch_scc0 .LBB18_513
; %bb.510:
	global_load_dwordx2 v[2:3], v[0:1], off
	s_mov_b64 s[0:1], 0
	s_waitcnt vmcnt(0)
	v_xor_b32_e32 v5, v2, v3
	v_ffbh_i32_e32 v4, v3
	v_ashrrev_i32_e32 v5, 31, v5
	v_add_u32_e32 v4, -1, v4
	v_add_u32_e32 v5, 32, v5
	v_min_u32_e32 v4, v4, v5
	v_lshlrev_b64 v[2:3], v4, v[2:3]
	v_min_u32_e32 v2, 1, v2
	v_or_b32_e32 v2, v3, v2
	v_cvt_f32_i32_e32 v2, v2
	v_sub_u32_e32 v3, 32, v4
	v_ldexp_f32 v2, v2, v3
	s_branch .LBB18_514
.LBB18_511:
	s_mov_b64 s[0:1], -1
                                        ; implicit-def: $vgpr2
	s_branch .LBB18_520
.LBB18_512:
	s_mov_b64 s[0:1], -1
                                        ; implicit-def: $vgpr2
	s_branch .LBB18_517
.LBB18_513:
	s_mov_b64 s[0:1], -1
                                        ; implicit-def: $vgpr2
.LBB18_514:
	s_andn2_b64 vcc, exec, s[0:1]
	s_cbranch_vccnz .LBB18_516
; %bb.515:
	global_load_dword v2, v[0:1], off
	s_waitcnt vmcnt(0)
	v_cvt_f32_i32_e32 v2, v2
.LBB18_516:
	s_mov_b64 s[0:1], 0
.LBB18_517:
	s_andn2_b64 vcc, exec, s[0:1]
	s_cbranch_vccnz .LBB18_519
; %bb.518:
	global_load_sshort v2, v[0:1], off
	s_waitcnt vmcnt(0)
	v_cvt_f32_i32_e32 v2, v2
.LBB18_519:
	s_mov_b64 s[0:1], 0
.LBB18_520:
	s_andn2_b64 vcc, exec, s[0:1]
	s_cbranch_vccnz .LBB18_526
; %bb.521:
	s_cmp_gt_i32 s26, 0
	s_cbranch_scc0 .LBB18_523
; %bb.522:
	global_load_sbyte v2, v[0:1], off
	s_mov_b64 s[0:1], 0
	s_waitcnt vmcnt(0)
	v_cvt_f32_i32_e32 v2, v2
	s_branch .LBB18_524
.LBB18_523:
	s_mov_b64 s[0:1], -1
                                        ; implicit-def: $vgpr2
.LBB18_524:
	s_andn2_b64 vcc, exec, s[0:1]
	s_cbranch_vccnz .LBB18_526
; %bb.525:
	global_load_ubyte v0, v[0:1], off
	s_waitcnt vmcnt(0)
	v_cvt_f32_ubyte0_e32 v2, v0
.LBB18_526:
	s_branch .LBB18_274
.LBB18_527:
	s_mov_b64 s[24:25], 0
                                        ; implicit-def: $vgpr7
	s_mov_b64 s[0:1], s[6:7]
.LBB18_528:
	s_andn2_b64 s[20:21], s[6:7], exec
	s_and_b64 s[0:1], s[0:1], exec
	s_or_b64 s[20:21], s[20:21], s[0:1]
	s_andn2_b64 s[0:1], s[14:15], exec
	s_and_b64 s[18:19], s[18:19], exec
	s_or_b64 s[18:19], s[0:1], s[18:19]
	s_orn2_b64 s[0:1], s[24:25], exec
.LBB18_529:
	s_or_b64 exec, exec, s[22:23]
	s_mov_b64 s[24:25], 0
	s_mov_b64 s[26:27], 0
	;; [unrolled: 1-line block ×3, first 2 shown]
                                        ; implicit-def: $vgpr0_vgpr1
                                        ; implicit-def: $vgpr4
	s_and_saveexec_b64 s[22:23], s[0:1]
	s_cbranch_execz .LBB18_882
; %bb.530:
	v_cmp_gt_i32_e32 vcc, s38, v7
	s_mov_b64 s[34:35], -1
	s_mov_b64 s[0:1], s[18:19]
	s_mov_b64 s[28:29], s[20:21]
	s_and_saveexec_b64 s[24:25], vcc
	s_cbranch_execz .LBB18_796
; %bb.531:
	v_mul_lo_u32 v0, v7, s3
	v_mov_b32_e32 v1, s11
	s_and_b32 s34, 0xffff, s42
	s_cmp_lt_i32 s34, 11
	s_waitcnt vmcnt(0)
	v_ashrrev_i32_e32 v2, 31, v0
	v_add_co_u32_e32 v0, vcc, s10, v0
	v_addc_co_u32_e32 v1, vcc, v1, v2, vcc
	s_cbranch_scc1 .LBB18_538
; %bb.532:
	s_cmp_gt_i32 s34, 25
	s_cbranch_scc0 .LBB18_539
; %bb.533:
	s_cmp_gt_i32 s34, 28
	s_cbranch_scc0 .LBB18_540
	;; [unrolled: 3-line block ×4, first 2 shown]
; %bb.536:
	s_cmp_eq_u32 s34, 46
	s_mov_b64 s[28:29], 0
	s_cbranch_scc0 .LBB18_547
; %bb.537:
	global_load_dword v2, v[0:1], off
	s_mov_b64 s[0:1], -1
	s_waitcnt vmcnt(0)
	v_lshlrev_b32_e32 v2, 16, v2
	s_branch .LBB18_548
.LBB18_538:
	s_mov_b64 s[28:29], -1
	s_mov_b64 s[0:1], 0
                                        ; implicit-def: $vgpr2
	s_mov_b64 s[26:27], s[18:19]
	s_branch .LBB18_613
.LBB18_539:
	s_mov_b64 s[28:29], -1
	s_mov_b64 s[0:1], 0
	s_mov_b64 s[26:27], s[18:19]
                                        ; implicit-def: $vgpr2
	s_branch .LBB18_577
.LBB18_540:
	s_mov_b64 s[28:29], -1
	s_mov_b64 s[0:1], 0
	s_mov_b64 s[26:27], s[18:19]
                                        ; implicit-def: $vgpr2
	s_branch .LBB18_558
.LBB18_541:
	s_mov_b64 s[28:29], -1
	s_mov_b64 s[0:1], 0
	s_mov_b64 s[26:27], s[18:19]
                                        ; implicit-def: $vgpr2
	s_branch .LBB18_553
.LBB18_542:
	s_andn2_saveexec_b64 s[26:27], s[26:27]
	s_cbranch_execz .LBB18_327
.LBB18_543:
	s_mov_b32 s30, 0x46000000
	v_add_f32_e64 v1, |v0|, s30
	v_and_b32_e32 v1, 0xff, v1
	v_cmp_ne_u32_e32 vcc, 0, v1
	s_andn2_b64 s[24:25], s[24:25], exec
	s_and_b64 s[30:31], vcc, exec
	s_or_b64 s[24:25], s[24:25], s[30:31]
	s_or_b64 exec, exec, s[26:27]
	v_mov_b32_e32 v4, 0
	s_and_saveexec_b64 s[26:27], s[24:25]
	s_cbranch_execnz .LBB18_328
	s_branch .LBB18_329
.LBB18_544:
	s_mov_b64 s[28:29], -1
	s_mov_b64 s[0:1], 0
	s_mov_b64 s[26:27], s[18:19]
                                        ; implicit-def: $vgpr2
	s_branch .LBB18_548
.LBB18_545:
	s_andn2_saveexec_b64 s[26:27], s[26:27]
	s_cbranch_execz .LBB18_340
.LBB18_546:
	s_mov_b32 s30, 0x42800000
	v_add_f32_e64 v1, |v0|, s30
	v_and_b32_e32 v1, 0xff, v1
	v_cmp_ne_u32_e32 vcc, 0, v1
	s_andn2_b64 s[24:25], s[24:25], exec
	s_and_b64 s[30:31], vcc, exec
	s_or_b64 s[24:25], s[24:25], s[30:31]
	s_or_b64 exec, exec, s[26:27]
	v_mov_b32_e32 v4, 0
	s_and_saveexec_b64 s[26:27], s[24:25]
	s_cbranch_execnz .LBB18_341
	s_branch .LBB18_342
.LBB18_547:
	s_mov_b64 s[26:27], -1
                                        ; implicit-def: $vgpr2
	s_mov_b64 s[0:1], 0
.LBB18_548:
	s_and_b64 vcc, exec, s[28:29]
	s_cbranch_vccz .LBB18_552
; %bb.549:
	s_cmp_eq_u32 s34, 44
	s_cbranch_scc0 .LBB18_551
; %bb.550:
	global_load_ubyte v2, v[0:1], off
	s_movk_i32 s26, 0xff
	v_mov_b32_e32 v3, 0x7f800001
	v_mov_b32_e32 v4, 0x400000
	s_mov_b64 s[0:1], -1
	s_waitcnt vmcnt(0)
	v_lshlrev_b32_e32 v5, 23, v2
	v_cmp_ne_u32_e32 vcc, s26, v2
	v_cndmask_b32_e32 v3, v3, v5, vcc
	v_cmp_ne_u32_e32 vcc, 0, v2
	v_cndmask_b32_e32 v2, v4, v3, vcc
	s_mov_b64 s[26:27], 0
	s_branch .LBB18_552
.LBB18_551:
	s_mov_b64 s[26:27], -1
                                        ; implicit-def: $vgpr2
.LBB18_552:
	s_mov_b64 s[28:29], 0
.LBB18_553:
	s_and_b64 vcc, exec, s[28:29]
	s_cbranch_vccz .LBB18_557
; %bb.554:
	s_cmp_eq_u32 s34, 29
	s_cbranch_scc0 .LBB18_556
; %bb.555:
	global_load_dwordx2 v[2:3], v[0:1], off
	s_mov_b64 s[0:1], -1
	s_mov_b64 s[26:27], 0
	s_mov_b64 s[28:29], 0
	s_waitcnt vmcnt(0)
	v_ffbh_u32_e32 v4, v3
	v_min_u32_e32 v4, 32, v4
	v_lshlrev_b64 v[2:3], v4, v[2:3]
	v_min_u32_e32 v2, 1, v2
	v_or_b32_e32 v2, v3, v2
	v_cvt_f32_u32_e32 v2, v2
	v_sub_u32_e32 v3, 32, v4
	v_ldexp_f32 v2, v2, v3
	s_branch .LBB18_558
.LBB18_556:
	s_mov_b64 s[26:27], -1
                                        ; implicit-def: $vgpr2
.LBB18_557:
	s_mov_b64 s[28:29], 0
.LBB18_558:
	s_and_b64 vcc, exec, s[28:29]
	s_cbranch_vccz .LBB18_576
; %bb.559:
	s_cmp_lt_i32 s34, 27
	s_cbranch_scc1 .LBB18_562
; %bb.560:
	s_cmp_gt_i32 s34, 27
	s_cbranch_scc0 .LBB18_563
; %bb.561:
	global_load_dword v2, v[0:1], off
	s_mov_b64 s[0:1], 0
	s_waitcnt vmcnt(0)
	v_cvt_f32_u32_e32 v2, v2
	s_branch .LBB18_564
.LBB18_562:
	s_mov_b64 s[0:1], -1
                                        ; implicit-def: $vgpr2
	s_branch .LBB18_567
.LBB18_563:
	s_mov_b64 s[0:1], -1
                                        ; implicit-def: $vgpr2
.LBB18_564:
	s_andn2_b64 vcc, exec, s[0:1]
	s_cbranch_vccnz .LBB18_566
; %bb.565:
	global_load_ushort v2, v[0:1], off
	s_waitcnt vmcnt(0)
	v_cvt_f32_u32_e32 v2, v2
.LBB18_566:
	s_mov_b64 s[0:1], 0
.LBB18_567:
	s_andn2_b64 vcc, exec, s[0:1]
	s_cbranch_vccnz .LBB18_575
; %bb.568:
	global_load_ubyte v3, v[0:1], off
	s_movk_i32 s0, 0x7f
	s_waitcnt vmcnt(0)
	v_cmp_lt_i16_e32 vcc, s0, v3
	s_mov_b64 s[0:1], 0
	s_and_saveexec_b64 s[28:29], vcc
	s_xor_b64 s[28:29], exec, s[28:29]
	s_cbranch_execz .LBB18_589
; %bb.569:
	s_movk_i32 s0, 0x80
	v_cmp_eq_u16_e32 vcc, s0, v3
	s_mov_b64 s[0:1], -1
	s_and_saveexec_b64 s[30:31], vcc
; %bb.570:
	s_xor_b64 s[0:1], exec, -1
; %bb.571:
	s_or_b64 exec, exec, s[30:31]
	s_and_b64 s[0:1], s[0:1], exec
	s_or_saveexec_b64 s[28:29], s[28:29]
	v_mov_b32_e32 v2, 0x7f800001
	s_xor_b64 exec, exec, s[28:29]
	s_cbranch_execnz .LBB18_590
.LBB18_572:
	s_or_b64 exec, exec, s[28:29]
	s_and_saveexec_b64 s[28:29], s[0:1]
	s_cbranch_execz .LBB18_574
.LBB18_573:
	v_lshlrev_b32_e32 v2, 24, v3
	v_and_b32_e32 v3, 0xffff, v3
	v_and_b32_e32 v4, 7, v3
	v_ffbh_u32_e32 v6, v4
	v_min_u32_e32 v6, 32, v6
	v_subrev_u32_e32 v8, 28, v6
	v_bfe_u32 v5, v3, 3, 4
	v_lshlrev_b32_e32 v3, v8, v3
	v_sub_u32_e32 v6, 29, v6
	v_and_b32_e32 v3, 7, v3
	v_cmp_eq_u32_e32 vcc, 0, v5
	v_cndmask_b32_e32 v5, v5, v6, vcc
	v_cndmask_b32_e32 v3, v4, v3, vcc
	v_mov_b32_e32 v4, 0x3b800000
	v_lshlrev_b32_e32 v3, 20, v3
	v_and_b32_e32 v2, 0x80000000, v2
	v_lshl_add_u32 v4, v5, 23, v4
	v_or3_b32 v2, v2, v4, v3
.LBB18_574:
	s_or_b64 exec, exec, s[28:29]
.LBB18_575:
	s_mov_b64 s[0:1], -1
.LBB18_576:
	s_mov_b64 s[28:29], 0
.LBB18_577:
	s_and_b64 vcc, exec, s[28:29]
	s_cbranch_vccz .LBB18_612
; %bb.578:
	s_cmp_gt_i32 s34, 22
	s_cbranch_scc0 .LBB18_588
; %bb.579:
	s_cmp_lt_i32 s34, 24
	s_cbranch_scc1 .LBB18_591
; %bb.580:
	s_cmp_gt_i32 s34, 24
	s_cbranch_scc0 .LBB18_592
; %bb.581:
	global_load_ubyte v3, v[0:1], off
	s_movk_i32 s0, 0x7f
	s_waitcnt vmcnt(0)
	v_cmp_lt_i16_e32 vcc, s0, v3
	s_mov_b64 s[0:1], 0
	s_and_saveexec_b64 s[28:29], vcc
	s_xor_b64 s[28:29], exec, s[28:29]
	s_cbranch_execz .LBB18_604
; %bb.582:
	s_movk_i32 s0, 0x80
	v_cmp_eq_u16_e32 vcc, s0, v3
	s_mov_b64 s[0:1], -1
	s_and_saveexec_b64 s[30:31], vcc
; %bb.583:
	s_xor_b64 s[0:1], exec, -1
; %bb.584:
	s_or_b64 exec, exec, s[30:31]
	s_and_b64 s[0:1], s[0:1], exec
	s_or_saveexec_b64 s[28:29], s[28:29]
	v_mov_b32_e32 v2, 0x7f800001
	s_xor_b64 exec, exec, s[28:29]
	s_cbranch_execnz .LBB18_605
.LBB18_585:
	s_or_b64 exec, exec, s[28:29]
	s_and_saveexec_b64 s[28:29], s[0:1]
	s_cbranch_execz .LBB18_587
.LBB18_586:
	v_lshlrev_b32_e32 v2, 24, v3
	v_and_b32_e32 v3, 0xffff, v3
	v_and_b32_e32 v4, 3, v3
	v_ffbh_u32_e32 v6, v4
	v_min_u32_e32 v6, 32, v6
	v_subrev_u32_e32 v8, 29, v6
	v_bfe_u32 v5, v3, 2, 5
	v_lshlrev_b32_e32 v3, v8, v3
	v_sub_u32_e32 v6, 30, v6
	v_and_b32_e32 v3, 3, v3
	v_cmp_eq_u32_e32 vcc, 0, v5
	v_cndmask_b32_e32 v5, v5, v6, vcc
	v_cndmask_b32_e32 v3, v4, v3, vcc
	v_mov_b32_e32 v4, 0x37800000
	v_lshlrev_b32_e32 v3, 21, v3
	v_and_b32_e32 v2, 0x80000000, v2
	v_lshl_add_u32 v4, v5, 23, v4
	v_or3_b32 v2, v2, v4, v3
.LBB18_587:
	s_or_b64 exec, exec, s[28:29]
	s_mov_b64 s[0:1], 0
	s_branch .LBB18_593
.LBB18_588:
	s_mov_b64 s[28:29], -1
                                        ; implicit-def: $vgpr2
	s_branch .LBB18_599
.LBB18_589:
	s_or_saveexec_b64 s[28:29], s[28:29]
	v_mov_b32_e32 v2, 0x7f800001
	s_xor_b64 exec, exec, s[28:29]
	s_cbranch_execz .LBB18_572
.LBB18_590:
	v_cmp_ne_u16_e32 vcc, 0, v3
	s_andn2_b64 s[0:1], s[0:1], exec
	s_and_b64 s[30:31], vcc, exec
	v_mov_b32_e32 v2, 0
	s_or_b64 s[0:1], s[0:1], s[30:31]
	s_or_b64 exec, exec, s[28:29]
	s_and_saveexec_b64 s[28:29], s[0:1]
	s_cbranch_execnz .LBB18_573
	s_branch .LBB18_574
.LBB18_591:
	s_mov_b64 s[0:1], -1
                                        ; implicit-def: $vgpr2
	s_branch .LBB18_596
.LBB18_592:
	s_mov_b64 s[0:1], -1
                                        ; implicit-def: $vgpr2
.LBB18_593:
	s_and_b64 vcc, exec, s[0:1]
	s_cbranch_vccz .LBB18_595
; %bb.594:
	global_load_ubyte v2, v[0:1], off
	s_mov_b32 s0, 0x7f800000
	s_waitcnt vmcnt(0)
	v_lshlrev_b32_e32 v2, 24, v2
	v_and_b32_e32 v3, 0x7f000000, v2
	v_ffbh_u32_e32 v4, v3
	v_min_u32_e32 v4, 32, v4
	v_sub_u32_e64 v4, v4, 4 clamp
	v_lshlrev_b32_e32 v6, v4, v3
	v_lshlrev_b32_e32 v4, 23, v4
	v_lshrrev_b32_e32 v6, 4, v6
	v_add_u32_e32 v5, 0x1000000, v3
	v_sub_u32_e32 v4, v6, v4
	v_ashrrev_i32_e32 v5, 8, v5
	v_add_u32_e32 v4, 0x3c000000, v4
	v_and_or_b32 v4, v5, s0, v4
	v_cmp_ne_u32_e32 vcc, 0, v3
	v_cndmask_b32_e32 v3, 0, v4, vcc
	s_brev_b32 s0, 1
	v_and_or_b32 v2, v2, s0, v3
.LBB18_595:
	s_mov_b64 s[0:1], 0
.LBB18_596:
	s_andn2_b64 vcc, exec, s[0:1]
	s_cbranch_vccnz .LBB18_598
; %bb.597:
	global_load_ubyte v2, v[0:1], off
	s_movk_i32 s0, 0x7f00
	s_brev_b32 s1, 16
	s_waitcnt vmcnt(0)
	v_lshlrev_b16_e32 v3, 8, v2
	v_lshlrev_b32_e32 v2, 25, v2
	v_lshrrev_b32_e32 v4, 4, v2
	v_and_or_b32 v5, v3, s0, 0.5
	v_or_b32_e32 v4, 0x70000000, v4
	v_add_f32_e32 v5, -0.5, v5
	v_mul_f32_e32 v4, 0x7800000, v4
	v_cmp_gt_u32_e32 vcc, s1, v2
	v_bfe_i32 v3, v3, 0, 16
	v_cndmask_b32_e32 v2, v4, v5, vcc
	s_brev_b32 s0, 1
	v_and_or_b32 v2, v3, s0, v2
.LBB18_598:
	s_mov_b64 s[28:29], 0
	s_mov_b64 s[0:1], -1
.LBB18_599:
	s_andn2_b64 vcc, exec, s[28:29]
	s_cbranch_vccnz .LBB18_612
; %bb.600:
	s_cmp_gt_i32 s34, 14
	s_cbranch_scc0 .LBB18_603
; %bb.601:
	s_cmp_eq_u32 s34, 15
	s_cbranch_scc0 .LBB18_606
; %bb.602:
	global_load_ushort v2, v[0:1], off
	s_mov_b64 s[0:1], -1
	s_mov_b64 s[26:27], 0
	s_waitcnt vmcnt(0)
	v_lshlrev_b32_e32 v2, 16, v2
	s_branch .LBB18_607
.LBB18_603:
	s_mov_b64 s[28:29], -1
                                        ; implicit-def: $vgpr2
	s_branch .LBB18_608
.LBB18_604:
	s_or_saveexec_b64 s[28:29], s[28:29]
	v_mov_b32_e32 v2, 0x7f800001
	s_xor_b64 exec, exec, s[28:29]
	s_cbranch_execz .LBB18_585
.LBB18_605:
	v_cmp_ne_u16_e32 vcc, 0, v3
	s_andn2_b64 s[0:1], s[0:1], exec
	s_and_b64 s[30:31], vcc, exec
	v_mov_b32_e32 v2, 0
	s_or_b64 s[0:1], s[0:1], s[30:31]
	s_or_b64 exec, exec, s[28:29]
	s_and_saveexec_b64 s[28:29], s[0:1]
	s_cbranch_execnz .LBB18_586
	s_branch .LBB18_587
.LBB18_606:
	s_mov_b64 s[26:27], -1
                                        ; implicit-def: $vgpr2
.LBB18_607:
	s_mov_b64 s[28:29], 0
.LBB18_608:
	s_and_b64 vcc, exec, s[28:29]
	s_cbranch_vccz .LBB18_612
; %bb.609:
	s_cmp_eq_u32 s34, 11
	s_cbranch_scc0 .LBB18_611
; %bb.610:
	global_load_ubyte v2, v[0:1], off
	s_mov_b64 s[0:1], -1
	s_mov_b64 s[26:27], 0
	s_waitcnt vmcnt(0)
	v_cmp_ne_u16_e32 vcc, 0, v2
	v_cndmask_b32_e64 v2, 0, 1.0, vcc
	s_branch .LBB18_612
.LBB18_611:
	s_mov_b64 s[26:27], -1
                                        ; implicit-def: $vgpr2
.LBB18_612:
	s_mov_b64 s[28:29], 0
.LBB18_613:
	s_and_b64 vcc, exec, s[28:29]
	s_cbranch_vccz .LBB18_662
; %bb.614:
	s_cmp_lt_i32 s34, 5
	s_cbranch_scc1 .LBB18_619
; %bb.615:
	s_cmp_lt_i32 s34, 8
	s_cbranch_scc1 .LBB18_620
	;; [unrolled: 3-line block ×3, first 2 shown]
; %bb.617:
	s_cmp_gt_i32 s34, 9
	s_cbranch_scc0 .LBB18_622
; %bb.618:
	global_load_dwordx2 v[2:3], v[0:1], off
	s_mov_b64 s[0:1], 0
	s_waitcnt vmcnt(0)
	v_cvt_f32_f64_e32 v2, v[2:3]
	s_branch .LBB18_623
.LBB18_619:
	s_mov_b64 s[0:1], -1
                                        ; implicit-def: $vgpr2
	s_branch .LBB18_641
.LBB18_620:
	s_mov_b64 s[0:1], -1
                                        ; implicit-def: $vgpr2
	s_branch .LBB18_629
.LBB18_621:
	s_mov_b64 s[0:1], -1
                                        ; implicit-def: $vgpr2
	s_branch .LBB18_626
.LBB18_622:
	s_mov_b64 s[0:1], -1
                                        ; implicit-def: $vgpr2
.LBB18_623:
	s_andn2_b64 vcc, exec, s[0:1]
	s_cbranch_vccnz .LBB18_625
; %bb.624:
	global_load_dword v2, v[0:1], off
.LBB18_625:
	s_mov_b64 s[0:1], 0
.LBB18_626:
	s_andn2_b64 vcc, exec, s[0:1]
	s_cbranch_vccnz .LBB18_628
; %bb.627:
	global_load_dword v2, v[0:1], off
	s_waitcnt vmcnt(0)
	v_cvt_f32_f16_e32 v2, v2
.LBB18_628:
	s_mov_b64 s[0:1], 0
.LBB18_629:
	s_andn2_b64 vcc, exec, s[0:1]
	s_cbranch_vccnz .LBB18_640
; %bb.630:
	s_cmp_lt_i32 s34, 6
	s_cbranch_scc1 .LBB18_633
; %bb.631:
	s_cmp_gt_i32 s34, 6
	s_cbranch_scc0 .LBB18_634
; %bb.632:
	global_load_dwordx2 v[2:3], v[0:1], off
	s_mov_b64 s[0:1], 0
	s_waitcnt vmcnt(0)
	v_cvt_f32_f64_e32 v2, v[2:3]
	s_branch .LBB18_635
.LBB18_633:
	s_mov_b64 s[0:1], -1
                                        ; implicit-def: $vgpr2
	s_branch .LBB18_638
.LBB18_634:
	s_mov_b64 s[0:1], -1
                                        ; implicit-def: $vgpr2
.LBB18_635:
	s_andn2_b64 vcc, exec, s[0:1]
	s_cbranch_vccnz .LBB18_637
; %bb.636:
	global_load_dword v2, v[0:1], off
.LBB18_637:
	s_mov_b64 s[0:1], 0
.LBB18_638:
	s_andn2_b64 vcc, exec, s[0:1]
	s_cbranch_vccnz .LBB18_640
; %bb.639:
	global_load_ushort v2, v[0:1], off
	s_waitcnt vmcnt(0)
	v_cvt_f32_f16_e32 v2, v2
.LBB18_640:
	s_mov_b64 s[0:1], 0
.LBB18_641:
	s_andn2_b64 vcc, exec, s[0:1]
	s_cbranch_vccnz .LBB18_661
; %bb.642:
	s_cmp_lt_i32 s34, 2
	s_cbranch_scc1 .LBB18_646
; %bb.643:
	s_cmp_lt_i32 s34, 3
	s_cbranch_scc1 .LBB18_647
; %bb.644:
	s_cmp_gt_i32 s34, 3
	s_cbranch_scc0 .LBB18_648
; %bb.645:
	global_load_dwordx2 v[2:3], v[0:1], off
	s_mov_b64 s[0:1], 0
	s_waitcnt vmcnt(0)
	v_xor_b32_e32 v5, v2, v3
	v_ffbh_i32_e32 v4, v3
	v_ashrrev_i32_e32 v5, 31, v5
	v_add_u32_e32 v4, -1, v4
	v_add_u32_e32 v5, 32, v5
	v_min_u32_e32 v4, v4, v5
	v_lshlrev_b64 v[2:3], v4, v[2:3]
	v_min_u32_e32 v2, 1, v2
	v_or_b32_e32 v2, v3, v2
	v_cvt_f32_i32_e32 v2, v2
	v_sub_u32_e32 v3, 32, v4
	v_ldexp_f32 v2, v2, v3
	s_branch .LBB18_649
.LBB18_646:
	s_mov_b64 s[0:1], -1
                                        ; implicit-def: $vgpr2
	s_branch .LBB18_655
.LBB18_647:
	s_mov_b64 s[0:1], -1
                                        ; implicit-def: $vgpr2
	s_branch .LBB18_652
.LBB18_648:
	s_mov_b64 s[0:1], -1
                                        ; implicit-def: $vgpr2
.LBB18_649:
	s_andn2_b64 vcc, exec, s[0:1]
	s_cbranch_vccnz .LBB18_651
; %bb.650:
	global_load_dword v2, v[0:1], off
	s_waitcnt vmcnt(0)
	v_cvt_f32_i32_e32 v2, v2
.LBB18_651:
	s_mov_b64 s[0:1], 0
.LBB18_652:
	s_andn2_b64 vcc, exec, s[0:1]
	s_cbranch_vccnz .LBB18_654
; %bb.653:
	global_load_sshort v2, v[0:1], off
	s_waitcnt vmcnt(0)
	v_cvt_f32_i32_e32 v2, v2
.LBB18_654:
	s_mov_b64 s[0:1], 0
.LBB18_655:
	s_andn2_b64 vcc, exec, s[0:1]
	s_cbranch_vccnz .LBB18_661
; %bb.656:
	s_cmp_gt_i32 s34, 0
	s_cbranch_scc0 .LBB18_658
; %bb.657:
	global_load_sbyte v2, v[0:1], off
	s_mov_b64 s[0:1], 0
	s_waitcnt vmcnt(0)
	v_cvt_f32_i32_e32 v2, v2
	s_branch .LBB18_659
.LBB18_658:
	s_mov_b64 s[0:1], -1
                                        ; implicit-def: $vgpr2
.LBB18_659:
	s_andn2_b64 vcc, exec, s[0:1]
	s_cbranch_vccnz .LBB18_661
; %bb.660:
	global_load_ubyte v0, v[0:1], off
	s_waitcnt vmcnt(0)
	v_cvt_f32_ubyte0_e32 v2, v0
.LBB18_661:
	s_mov_b64 s[0:1], -1
.LBB18_662:
	s_andn2_b64 vcc, exec, s[0:1]
	s_cbranch_vccnz .LBB18_678
; %bb.663:
	s_waitcnt vmcnt(0)
	v_cmp_neq_f32_e32 vcc, 0, v2
	v_mov_b32_e32 v0, 0x7f800000
	s_and_saveexec_b64 s[28:29], vcc
	s_cbranch_execz .LBB18_671
; %bb.664:
	v_cmp_ngt_f32_e32 vcc, 0, v2
	v_mov_b32_e32 v0, 0x7fc00000
	s_and_saveexec_b64 s[30:31], vcc
	s_cbranch_execz .LBB18_670
; %bb.665:
	v_cmp_ge_f32_e32 vcc, 2.0, v2
                                        ; implicit-def: $vgpr0
	s_and_saveexec_b64 s[0:1], vcc
	s_xor_b64 s[34:35], exec, s[0:1]
	s_cbranch_execz .LBB18_667
; %bb.666:
	v_fma_f32 v0, v2, v2, -2.0
	v_mov_b32_e32 v1, 0x293fd856
	v_fmac_f32_e32 v1, 0x251e770f, v0
	v_mov_b32_e32 v3, 0xa51e770f
	v_fmac_f32_e32 v3, v0, v1
	v_add_f32_e32 v3, 0x2d3612e2, v3
	v_fma_f32 v1, v0, v3, -v1
	v_add_f32_e32 v1, 0x3102e09b, v1
	v_fma_f32 v3, v0, v1, -v3
	;; [unrolled: 2-line block ×7, first 2 shown]
	v_mul_f32_e32 v3, 0.5, v2
	s_mov_b32 s0, 0x800000
	v_cmp_gt_f32_e32 vcc, s0, v3
	v_cndmask_b32_e64 v4, 0, 32, vcc
	v_ldexp_f32 v3, v3, v4
	v_log_f32_e32 v3, v3
	v_add_f32_e32 v0, 0xbf090b37, v0
	v_sub_f32_e32 v0, v0, v1
	s_mov_b32 s0, 0x3f317217
	v_mul_f32_e32 v1, 0x3f317217, v3
	v_fma_f32 v1, v3, s0, -v1
	v_fmac_f32_e32 v1, 0x3377d1cf, v3
	s_mov_b32 s0, 0x7f800000
	v_fmac_f32_e32 v1, 0x3f317217, v3
	v_cmp_lt_f32_e64 s[0:1], |v3|, s0
	v_cndmask_b32_e64 v1, v3, v1, s[0:1]
	v_mul_f32_e32 v3, 0x3fb8aa3b, v2
	s_mov_b32 s0, 0x3fb8aa3b
	v_rndne_f32_e32 v4, v3
	v_sub_f32_e32 v5, v3, v4
	v_fma_f32 v3, v2, s0, -v3
	v_fmac_f32_e32 v3, 0x32a5705f, v2
	v_add_f32_e32 v3, v5, v3
	v_exp_f32_e32 v3, v3
	v_cvt_i32_f32_e32 v4, v4
	v_mov_b32_e32 v5, 0x41b17218
	s_mov_b32 s0, 0xc2ce8ed0
	v_cndmask_b32_e32 v5, 0, v5, vcc
	v_ldexp_f32 v3, v3, v4
	v_cmp_ngt_f32_e32 vcc, s0, v2
	s_mov_b32 s0, 0x42b17218
	v_cndmask_b32_e32 v3, 0, v3, vcc
	v_mov_b32_e32 v4, 0x7f800000
	v_cmp_nlt_f32_e32 vcc, s0, v2
	v_cndmask_b32_e32 v3, v4, v3, vcc
	v_fma_f32 v2, v2, 0.5, -2.0
	v_mov_b32_e32 v4, 0x24199b15
	v_sub_f32_e32 v1, v1, v5
	v_fmac_f32_e32 v4, 0xa2a2e5b9, v2
	v_mov_b32_e32 v5, 0x22a2e5b9
	v_fmac_f32_e32 v5, v2, v4
	v_add_f32_e32 v5, 0xa58c275c, v5
	v_fma_f32 v4, v2, v5, -v4
	v_add_f32_e32 v4, 0x26f736c5, v4
	v_fma_f32 v5, v2, v4, -v5
	;; [unrolled: 2-line block ×27, first 2 shown]
	v_add_f32_e32 v2, 0x3f2d4275, v2
	v_sub_f32_e32 v2, v2, v4
	v_mul_f32_e32 v2, 0.5, v2
	v_mul_f32_e32 v2, v3, v2
	v_mul_f32_e32 v1, v1, v2
	v_fma_f32 v0, v0, 0.5, -v1
	v_mul_f32_e32 v0, v3, v0
                                        ; implicit-def: $vgpr2
.LBB18_667:
	s_andn2_saveexec_b64 s[34:35], s[34:35]
	s_cbranch_execz .LBB18_669
; %bb.668:
	s_mov_b32 s36, 0x41000000
	v_div_scale_f32 v0, s[0:1], v2, v2, s36
	v_div_scale_f32 v1, vcc, s36, v2, s36
	s_mov_b32 s0, 0xf800000
	v_mul_f32_e32 v3, 0x4f800000, v2
	v_cmp_gt_f32_e64 s[0:1], s0, v2
	v_cndmask_b32_e64 v3, v2, v3, s[0:1]
	v_sqrt_f32_e32 v5, v3
	v_add_u32_e32 v9, 1, v5
	v_fma_f32 v11, -v9, v5, v3
	v_rcp_f32_e32 v4, v0
	v_fma_f32 v6, -v0, v4, 1.0
	v_fmac_f32_e32 v4, v6, v4
	v_mul_f32_e32 v6, v1, v4
	v_fma_f32 v8, -v0, v6, v1
	v_fmac_f32_e32 v6, v8, v4
	v_fma_f32 v0, -v0, v6, v1
	v_div_fmas_f32 v0, v0, v4, v6
	v_mov_b32_e32 v1, 0xa397f665
	v_mov_b32_e32 v4, 0xa2c38d2e
	v_add_u32_e32 v8, -1, v5
	v_fma_f32 v10, -v8, v5, v3
	v_cmp_ge_f32_e32 vcc, 0, v10
	v_cndmask_b32_e32 v5, v5, v8, vcc
	v_cmp_lt_f32_e32 vcc, 0, v11
	v_cndmask_b32_e32 v5, v5, v9, vcc
	v_mov_b32_e32 v6, 0x260
	v_mul_f32_e32 v8, 0x37800000, v5
	v_cndmask_b32_e64 v5, v5, v8, s[0:1]
	v_cmp_class_f32_e32 vcc, v3, v6
	v_cndmask_b32_e32 v3, v5, v3, vcc
	v_div_fixup_f32 v0, v0, v2, s36
	v_add_f32_e32 v0, -2.0, v0
	v_fmac_f32_e32 v1, 0x22c38d2e, v0
	v_fmac_f32_e32 v4, v0, v1
	v_add_f32_e32 v2, 0x24704972, v4
	v_fma_f32 v1, v0, v2, -v1
	v_add_f32_e32 v1, 0xa5417ca4, v1
	v_fma_f32 v2, v0, v1, -v2
	;; [unrolled: 2-line block ×22, first 2 shown]
	v_add_f32_e32 v0, 0x401c2ded, v0
	v_sub_f32_e32 v0, v0, v2
	v_mul_f32_e32 v0, 0.5, v0
	v_div_scale_f32 v1, s[0:1], v3, v3, v0
	v_div_scale_f32 v2, vcc, v0, v3, v0
	v_rcp_f32_e32 v4, v1
	v_fma_f32 v5, -v1, v4, 1.0
	v_fmac_f32_e32 v4, v5, v4
	v_mul_f32_e32 v5, v2, v4
	v_fma_f32 v6, -v1, v5, v2
	v_fmac_f32_e32 v5, v6, v4
	v_fma_f32 v1, -v1, v5, v2
	v_div_fmas_f32 v1, v1, v4, v5
	v_div_fixup_f32 v0, v1, v3, v0
.LBB18_669:
	s_or_b64 exec, exec, s[34:35]
.LBB18_670:
	s_or_b64 exec, exec, s[30:31]
.LBB18_671:
	s_or_b64 exec, exec, s[28:29]
	v_mul_lo_u32 v1, v7, s2
	v_mov_b32_e32 v3, s9
	s_and_b32 s36, s33, 0xff
	s_cmp_lt_i32 s36, 11
	v_ashrrev_i32_e32 v4, 31, v1
	v_add_co_u32_e32 v2, vcc, s8, v1
	v_addc_co_u32_e32 v3, vcc, v3, v4, vcc
	s_cbranch_scc1 .LBB18_679
; %bb.672:
	s_and_b32 s37, 0xffff, s36
	s_cmp_gt_i32 s37, 25
	s_cbranch_scc0 .LBB18_680
; %bb.673:
	s_cmp_gt_i32 s37, 28
	s_cbranch_scc0 .LBB18_681
; %bb.674:
	;; [unrolled: 3-line block ×4, first 2 shown]
	s_mov_b64 s[30:31], 0
	s_mov_b64 s[0:1], -1
	s_cmp_eq_u32 s37, 46
	s_mov_b64 s[28:29], 0
	s_cbranch_scc0 .LBB18_684
; %bb.677:
	v_bfe_u32 v1, v0, 16, 1
	s_movk_i32 s0, 0x7fff
	v_add3_u32 v1, v0, v1, s0
	v_cmp_o_f32_e32 vcc, v0, v0
	v_mov_b32_e32 v4, 0x7fc0
	v_cndmask_b32_sdwa v1, v4, v1, vcc dst_sel:DWORD dst_unused:UNUSED_PAD src0_sel:DWORD src1_sel:WORD_1
	global_store_dword v[2:3], v1, off
	s_mov_b64 s[28:29], -1
	s_mov_b64 s[0:1], 0
	s_branch .LBB18_684
.LBB18_678:
	s_mov_b64 s[30:31], 0
                                        ; implicit-def: $vgpr7
	s_mov_b64 s[0:1], s[20:21]
	s_branch .LBB18_795
.LBB18_679:
	s_mov_b64 s[30:31], -1
	s_mov_b64 s[28:29], 0
	s_mov_b64 s[0:1], s[20:21]
	s_branch .LBB18_753
.LBB18_680:
	s_mov_b64 s[30:31], -1
	s_mov_b64 s[28:29], 0
	s_mov_b64 s[0:1], s[20:21]
	s_branch .LBB18_711
.LBB18_681:
	s_mov_b64 s[30:31], -1
	s_mov_b64 s[28:29], 0
	s_mov_b64 s[0:1], s[20:21]
	s_branch .LBB18_694
.LBB18_682:
	s_mov_b64 s[30:31], -1
	s_mov_b64 s[28:29], 0
	s_mov_b64 s[0:1], s[20:21]
	s_branch .LBB18_690
.LBB18_683:
	s_mov_b64 s[30:31], -1
	s_mov_b64 s[28:29], 0
	s_mov_b64 s[0:1], s[20:21]
.LBB18_684:
	s_and_b64 vcc, exec, s[30:31]
	s_cbranch_vccz .LBB18_689
; %bb.685:
	s_cmp_eq_u32 s37, 44
	s_mov_b64 s[0:1], -1
	s_cbranch_scc0 .LBB18_689
; %bb.686:
	v_bfe_u32 v1, v0, 23, 8
	s_movk_i32 s0, 0xff
	v_cmp_ne_u32_e32 vcc, s0, v1
	v_mov_b32_e32 v4, 0xff
	s_and_saveexec_b64 s[28:29], vcc
; %bb.687:
	s_mov_b32 s0, 0x3fffff
	v_and_b32_e32 v5, 0x400000, v0
	v_and_or_b32 v1, v0, s0, v1
	v_cmp_ne_u32_e32 vcc, 0, v5
	v_cmp_ne_u32_e64 s[0:1], 0, v1
	s_and_b64 s[0:1], vcc, s[0:1]
	v_lshrrev_b32_e32 v4, 23, v0
	v_cndmask_b32_e64 v1, 0, 1, s[0:1]
	v_add_u32_e32 v4, v4, v1
; %bb.688:
	s_or_b64 exec, exec, s[28:29]
	s_mov_b64 s[28:29], -1
	s_mov_b64 s[0:1], 0
	global_store_byte v[2:3], v4, off
.LBB18_689:
	s_mov_b64 s[30:31], 0
.LBB18_690:
	s_and_b64 vcc, exec, s[30:31]
	s_cbranch_vccz .LBB18_693
; %bb.691:
	s_cmp_eq_u32 s37, 29
	s_mov_b64 s[0:1], -1
	s_cbranch_scc0 .LBB18_693
; %bb.692:
	v_trunc_f32_e32 v1, v0
	v_mul_f32_e32 v4, 0x2f800000, v1
	v_floor_f32_e32 v4, v4
	v_fmac_f32_e32 v1, 0xcf800000, v4
	v_cvt_u32_f32_e32 v5, v4
	v_cvt_u32_f32_e32 v4, v1
	s_mov_b64 s[28:29], -1
	s_mov_b64 s[0:1], 0
	s_mov_b64 s[30:31], 0
	global_store_dwordx2 v[2:3], v[4:5], off
	s_branch .LBB18_694
.LBB18_693:
	s_mov_b64 s[30:31], 0
.LBB18_694:
	s_and_b64 vcc, exec, s[30:31]
	s_cbranch_vccz .LBB18_710
; %bb.695:
	s_cmp_lt_i32 s37, 27
	s_mov_b64 s[28:29], -1
	s_cbranch_scc1 .LBB18_701
; %bb.696:
	v_cvt_u32_f32_e32 v1, v0
	s_cmp_gt_i32 s37, 27
	s_cbranch_scc0 .LBB18_698
; %bb.697:
	s_mov_b64 s[28:29], 0
	global_store_dword v[2:3], v1, off
.LBB18_698:
	s_andn2_b64 vcc, exec, s[28:29]
	s_cbranch_vccnz .LBB18_700
; %bb.699:
	global_store_short v[2:3], v1, off
.LBB18_700:
	s_mov_b64 s[28:29], 0
.LBB18_701:
	s_andn2_b64 vcc, exec, s[28:29]
	s_cbranch_vccnz .LBB18_709
; %bb.702:
	v_and_b32_e32 v1, 0x7fffffff, v0
	s_mov_b32 s28, 0x43800000
	v_cmp_gt_u32_e32 vcc, s28, v1
	v_mov_b32_e32 v4, 0x80
	s_and_saveexec_b64 s[28:29], vcc
	s_cbranch_execz .LBB18_708
; %bb.703:
	s_mov_b32 s30, 0x3bffffff
	v_cmp_lt_u32_e32 vcc, s30, v1
	s_mov_b64 s[30:31], 0
                                        ; implicit-def: $vgpr1
	s_and_saveexec_b64 s[34:35], vcc
	s_xor_b64 s[34:35], exec, s[34:35]
	s_cbranch_execz .LBB18_809
; %bb.704:
	v_bfe_u32 v1, v0, 20, 1
	s_mov_b32 s39, 0x487ffff
	v_add3_u32 v1, v0, v1, s39
	s_mov_b64 s[30:31], exec
	v_lshrrev_b32_e32 v1, 20, v1
	s_andn2_saveexec_b64 s[34:35], s[34:35]
	s_cbranch_execnz .LBB18_810
.LBB18_705:
	s_or_b64 exec, exec, s[34:35]
	v_mov_b32_e32 v4, 0
	s_and_saveexec_b64 s[34:35], s[30:31]
.LBB18_706:
	v_lshrrev_b32_e32 v4, 24, v0
	s_movk_i32 s30, 0x80
	v_and_or_b32 v4, v4, s30, v1
.LBB18_707:
	s_or_b64 exec, exec, s[34:35]
.LBB18_708:
	s_or_b64 exec, exec, s[28:29]
	global_store_byte v[2:3], v4, off
.LBB18_709:
	s_mov_b64 s[28:29], -1
.LBB18_710:
	s_mov_b64 s[30:31], 0
.LBB18_711:
	s_and_b64 vcc, exec, s[30:31]
	s_cbranch_vccz .LBB18_752
; %bb.712:
	s_cmp_gt_i32 s37, 22
	s_mov_b64 s[30:31], -1
	s_cbranch_scc0 .LBB18_744
; %bb.713:
	s_cmp_lt_i32 s37, 24
	s_mov_b64 s[28:29], -1
	s_cbranch_scc1 .LBB18_733
; %bb.714:
	s_cmp_gt_i32 s37, 24
	s_cbranch_scc0 .LBB18_722
; %bb.715:
	v_and_b32_e32 v1, 0x7fffffff, v0
	s_mov_b32 s28, 0x47800000
	v_cmp_gt_u32_e32 vcc, s28, v1
	v_mov_b32_e32 v4, 0x80
	s_and_saveexec_b64 s[28:29], vcc
	s_cbranch_execz .LBB18_721
; %bb.716:
	s_mov_b32 s30, 0x37ffffff
	v_cmp_lt_u32_e32 vcc, s30, v1
	s_mov_b64 s[30:31], 0
                                        ; implicit-def: $vgpr1
	s_and_saveexec_b64 s[34:35], vcc
	s_xor_b64 s[34:35], exec, s[34:35]
	s_cbranch_execz .LBB18_812
; %bb.717:
	v_bfe_u32 v1, v0, 21, 1
	s_mov_b32 s39, 0x88fffff
	v_add3_u32 v1, v0, v1, s39
	s_mov_b64 s[30:31], exec
	v_lshrrev_b32_e32 v1, 21, v1
	s_andn2_saveexec_b64 s[34:35], s[34:35]
	s_cbranch_execnz .LBB18_813
.LBB18_718:
	s_or_b64 exec, exec, s[34:35]
	v_mov_b32_e32 v4, 0
	s_and_saveexec_b64 s[34:35], s[30:31]
.LBB18_719:
	v_lshrrev_b32_e32 v4, 24, v0
	s_movk_i32 s30, 0x80
	v_and_or_b32 v4, v4, s30, v1
.LBB18_720:
	s_or_b64 exec, exec, s[34:35]
.LBB18_721:
	s_or_b64 exec, exec, s[28:29]
	s_mov_b64 s[28:29], 0
	global_store_byte v[2:3], v4, off
.LBB18_722:
	s_and_b64 vcc, exec, s[28:29]
	s_cbranch_vccz .LBB18_732
; %bb.723:
	v_and_b32_e32 v4, 0x7fffffff, v0
	s_mov_b32 s28, 0x43f00000
	v_cmp_gt_u32_e32 vcc, s28, v4
                                        ; implicit-def: $vgpr1
	s_and_saveexec_b64 s[28:29], vcc
	s_xor_b64 s[28:29], exec, s[28:29]
	s_cbranch_execz .LBB18_729
; %bb.724:
	s_mov_b32 s30, 0x3c7fffff
	v_cmp_lt_u32_e32 vcc, s30, v4
                                        ; implicit-def: $vgpr1
	s_and_saveexec_b64 s[30:31], vcc
	s_xor_b64 s[30:31], exec, s[30:31]
; %bb.725:
	v_bfe_u32 v1, v0, 20, 1
	s_mov_b32 s34, 0x407ffff
	v_add3_u32 v1, v0, v1, s34
	v_lshrrev_b32_e32 v4, 20, v1
	v_and_b32_e32 v1, 0xff00000, v1
	s_mov_b32 s34, 0x7f00000
	v_mov_b32_e32 v5, 0x7e
	v_cmp_ne_u32_e32 vcc, s34, v1
	v_cndmask_b32_e32 v1, v5, v4, vcc
; %bb.726:
	s_andn2_saveexec_b64 s[30:31], s[30:31]
; %bb.727:
	s_mov_b32 s34, 0x46800000
	v_add_f32_e64 v1, |v0|, s34
; %bb.728:
	s_or_b64 exec, exec, s[30:31]
                                        ; implicit-def: $vgpr4
.LBB18_729:
	s_andn2_saveexec_b64 s[28:29], s[28:29]
; %bb.730:
	s_mov_b32 s30, 0x7f800000
	v_mov_b32_e32 v1, 0x7e
	v_mov_b32_e32 v5, 0x7f
	v_cmp_lt_u32_e32 vcc, s30, v4
	v_cndmask_b32_e32 v1, v1, v5, vcc
; %bb.731:
	s_or_b64 exec, exec, s[28:29]
	v_lshrrev_b32_e32 v4, 24, v0
	s_movk_i32 s28, 0x80
	v_and_or_b32 v1, v4, s28, v1
	global_store_byte v[2:3], v1, off
.LBB18_732:
	s_mov_b64 s[28:29], 0
.LBB18_733:
	s_andn2_b64 vcc, exec, s[28:29]
	s_cbranch_vccnz .LBB18_743
; %bb.734:
	v_and_b32_e32 v4, 0x7fffffff, v0
	s_mov_b32 s28, 0x47800000
	v_cmp_gt_u32_e32 vcc, s28, v4
                                        ; implicit-def: $vgpr1
	s_and_saveexec_b64 s[28:29], vcc
	s_xor_b64 s[28:29], exec, s[28:29]
	s_cbranch_execz .LBB18_740
; %bb.735:
	s_mov_b32 s30, 0x387fffff
	v_cmp_lt_u32_e32 vcc, s30, v4
                                        ; implicit-def: $vgpr1
	s_and_saveexec_b64 s[30:31], vcc
	s_xor_b64 s[30:31], exec, s[30:31]
; %bb.736:
	v_bfe_u32 v1, v0, 21, 1
	s_mov_b32 s34, 0x80fffff
	v_add3_u32 v1, v0, v1, s34
	v_lshrrev_b32_e32 v1, 21, v1
; %bb.737:
	s_andn2_saveexec_b64 s[30:31], s[30:31]
; %bb.738:
	s_mov_b32 s34, 0x43000000
	v_add_f32_e64 v1, |v0|, s34
; %bb.739:
	s_or_b64 exec, exec, s[30:31]
                                        ; implicit-def: $vgpr4
.LBB18_740:
	s_andn2_saveexec_b64 s[28:29], s[28:29]
; %bb.741:
	s_mov_b32 s30, 0x7f800000
	v_mov_b32_e32 v1, 0x7c
	v_mov_b32_e32 v5, 0x7f
	v_cmp_lt_u32_e32 vcc, s30, v4
	v_cndmask_b32_e32 v1, v1, v5, vcc
; %bb.742:
	s_or_b64 exec, exec, s[28:29]
	v_lshrrev_b32_e32 v4, 24, v0
	s_movk_i32 s28, 0x80
	v_and_or_b32 v1, v4, s28, v1
	global_store_byte v[2:3], v1, off
.LBB18_743:
	s_mov_b64 s[30:31], 0
	s_mov_b64 s[28:29], -1
.LBB18_744:
	s_andn2_b64 vcc, exec, s[30:31]
	s_cbranch_vccnz .LBB18_752
; %bb.745:
	s_cmp_gt_i32 s37, 14
	s_mov_b64 s[30:31], -1
	s_cbranch_scc0 .LBB18_749
; %bb.746:
	s_cmp_eq_u32 s37, 15
	s_mov_b64 s[0:1], -1
	s_cbranch_scc0 .LBB18_748
; %bb.747:
	v_bfe_u32 v1, v0, 16, 1
	s_movk_i32 s0, 0x7fff
	v_add3_u32 v1, v0, v1, s0
	v_cmp_o_f32_e32 vcc, v0, v0
	v_mov_b32_e32 v4, 0x7fc0
	v_cndmask_b32_sdwa v1, v4, v1, vcc dst_sel:DWORD dst_unused:UNUSED_PAD src0_sel:DWORD src1_sel:WORD_1
	global_store_short v[2:3], v1, off
	s_mov_b64 s[28:29], -1
	s_mov_b64 s[0:1], 0
.LBB18_748:
	s_mov_b64 s[30:31], 0
.LBB18_749:
	s_and_b64 vcc, exec, s[30:31]
	s_cbranch_vccz .LBB18_752
; %bb.750:
	s_cmp_eq_u32 s37, 11
	s_mov_b64 s[0:1], -1
	s_cbranch_scc0 .LBB18_752
; %bb.751:
	v_cmp_neq_f32_e32 vcc, 0, v0
	v_cndmask_b32_e64 v1, 0, 1, vcc
	s_mov_b64 s[28:29], -1
	s_mov_b64 s[0:1], 0
	global_store_byte v[2:3], v1, off
.LBB18_752:
	s_mov_b64 s[30:31], 0
.LBB18_753:
	s_and_b64 vcc, exec, s[30:31]
	s_cbranch_vccz .LBB18_792
; %bb.754:
	s_and_b32 s30, 0xffff, s36
	s_cmp_lt_i32 s30, 5
	s_mov_b64 s[28:29], -1
	s_cbranch_scc1 .LBB18_775
; %bb.755:
	s_cmp_lt_i32 s30, 8
	s_cbranch_scc1 .LBB18_765
; %bb.756:
	s_cmp_lt_i32 s30, 9
	s_cbranch_scc1 .LBB18_762
; %bb.757:
	s_cmp_gt_i32 s30, 9
	s_cbranch_scc0 .LBB18_759
; %bb.758:
	v_cvt_f64_f32_e32 v[8:9], v0
	v_mov_b32_e32 v10, 0
	v_mov_b32_e32 v11, v10
	s_mov_b64 s[28:29], 0
	global_store_dwordx4 v[2:3], v[8:11], off
.LBB18_759:
	s_andn2_b64 vcc, exec, s[28:29]
	s_cbranch_vccnz .LBB18_761
; %bb.760:
	v_mov_b32_e32 v1, 0
	global_store_dwordx2 v[2:3], v[0:1], off
.LBB18_761:
	s_mov_b64 s[28:29], 0
.LBB18_762:
	s_andn2_b64 vcc, exec, s[28:29]
	s_cbranch_vccnz .LBB18_764
; %bb.763:
	v_cvt_f16_f32_e32 v1, v0
	global_store_dword v[2:3], v1, off
.LBB18_764:
	s_mov_b64 s[28:29], 0
.LBB18_765:
	s_andn2_b64 vcc, exec, s[28:29]
	s_cbranch_vccnz .LBB18_774
; %bb.766:
	s_cmp_lt_i32 s30, 6
	s_mov_b64 s[28:29], -1
	s_cbranch_scc1 .LBB18_772
; %bb.767:
	s_cmp_gt_i32 s30, 6
	s_cbranch_scc0 .LBB18_769
; %bb.768:
	v_cvt_f64_f32_e32 v[4:5], v0
	s_mov_b64 s[28:29], 0
	global_store_dwordx2 v[2:3], v[4:5], off
.LBB18_769:
	s_andn2_b64 vcc, exec, s[28:29]
	s_cbranch_vccnz .LBB18_771
; %bb.770:
	global_store_dword v[2:3], v0, off
.LBB18_771:
	s_mov_b64 s[28:29], 0
.LBB18_772:
	s_andn2_b64 vcc, exec, s[28:29]
	s_cbranch_vccnz .LBB18_774
; %bb.773:
	v_cvt_f16_f32_e32 v1, v0
	global_store_short v[2:3], v1, off
.LBB18_774:
	s_mov_b64 s[28:29], 0
.LBB18_775:
	s_andn2_b64 vcc, exec, s[28:29]
	s_cbranch_vccnz .LBB18_791
; %bb.776:
	s_cmp_lt_i32 s30, 2
	s_mov_b64 s[28:29], -1
	s_cbranch_scc1 .LBB18_786
; %bb.777:
	s_cmp_lt_i32 s30, 3
	s_cbranch_scc1 .LBB18_783
; %bb.778:
	s_cmp_gt_i32 s30, 3
	s_cbranch_scc0 .LBB18_780
; %bb.779:
	v_trunc_f32_e32 v1, v0
	s_mov_b32 s28, 0x2f800000
	v_mul_f32_e64 v4, |v1|, s28
	v_floor_f32_e32 v4, v4
	s_mov_b32 s28, 0xcf800000
	v_cvt_u32_f32_e32 v5, v4
	v_fma_f32 v4, v4, s28, |v1|
	v_cvt_u32_f32_e32 v4, v4
	v_ashrrev_i32_e32 v1, 31, v1
	v_xor_b32_e32 v5, v5, v1
	s_mov_b64 s[28:29], 0
	v_xor_b32_e32 v4, v4, v1
	v_sub_co_u32_e32 v4, vcc, v4, v1
	v_subb_co_u32_e32 v5, vcc, v5, v1, vcc
	global_store_dwordx2 v[2:3], v[4:5], off
.LBB18_780:
	s_andn2_b64 vcc, exec, s[28:29]
	s_cbranch_vccnz .LBB18_782
; %bb.781:
	v_cvt_i32_f32_e32 v1, v0
	global_store_dword v[2:3], v1, off
.LBB18_782:
	s_mov_b64 s[28:29], 0
.LBB18_783:
	s_andn2_b64 vcc, exec, s[28:29]
	s_cbranch_vccnz .LBB18_785
; %bb.784:
	v_cvt_i32_f32_e32 v1, v0
	global_store_short v[2:3], v1, off
.LBB18_785:
	s_mov_b64 s[28:29], 0
.LBB18_786:
	s_andn2_b64 vcc, exec, s[28:29]
	s_cbranch_vccnz .LBB18_791
; %bb.787:
	s_cmp_gt_i32 s30, 0
	s_mov_b64 s[28:29], -1
	s_cbranch_scc0 .LBB18_789
; %bb.788:
	v_cvt_i32_f32_e32 v1, v0
	s_mov_b64 s[28:29], 0
	global_store_byte v[2:3], v1, off
.LBB18_789:
	s_andn2_b64 vcc, exec, s[28:29]
	s_cbranch_vccnz .LBB18_791
; %bb.790:
	v_trunc_f32_e32 v0, v0
	s_mov_b32 s28, 0x2f800000
	v_mul_f32_e64 v1, |v0|, s28
	v_floor_f32_e32 v1, v1
	s_mov_b32 s28, 0xcf800000
	v_fma_f32 v1, v1, s28, |v0|
	v_cvt_u32_f32_e32 v1, v1
	v_ashrrev_i32_e32 v0, 31, v0
	v_xor_b32_e32 v1, v1, v0
	v_sub_u32_e32 v0, v1, v0
	global_store_byte v[2:3], v0, off
.LBB18_791:
	s_mov_b64 s[28:29], -1
.LBB18_792:
	s_andn2_b64 vcc, exec, s[28:29]
	s_cbranch_vccnz .LBB18_794
; %bb.793:
	v_add_u32_e32 v7, 0x80, v7
	s_mov_b64 s[30:31], -1
	s_branch .LBB18_795
.LBB18_794:
	s_mov_b64 s[30:31], 0
                                        ; implicit-def: $vgpr7
.LBB18_795:
	s_andn2_b64 s[28:29], s[20:21], exec
	s_and_b64 s[0:1], s[0:1], exec
	s_or_b64 s[28:29], s[28:29], s[0:1]
	s_andn2_b64 s[0:1], s[18:19], exec
	s_and_b64 s[26:27], s[26:27], exec
	s_or_b64 s[0:1], s[0:1], s[26:27]
	s_orn2_b64 s[34:35], s[30:31], exec
.LBB18_796:
	s_or_b64 exec, exec, s[24:25]
	s_mov_b64 s[30:31], 0
	s_mov_b64 s[26:27], 0
	;; [unrolled: 1-line block ×3, first 2 shown]
                                        ; implicit-def: $vgpr0_vgpr1
                                        ; implicit-def: $vgpr4
	s_and_saveexec_b64 s[24:25], s[34:35]
	s_cbranch_execz .LBB18_881
; %bb.797:
	v_cmp_gt_i32_e32 vcc, s38, v7
	s_mov_b64 s[34:35], 0
	s_mov_b64 s[38:39], s[0:1]
	;; [unrolled: 1-line block ×3, first 2 shown]
                                        ; implicit-def: $vgpr0_vgpr1
                                        ; implicit-def: $vgpr4
	s_and_saveexec_b64 s[26:27], vcc
	s_cbranch_execz .LBB18_880
; %bb.798:
	v_mul_lo_u32 v0, v7, s3
	v_mov_b32_e32 v1, s11
	s_and_b32 s43, 0xffff, s42
	s_cmp_lt_i32 s43, 11
	s_waitcnt vmcnt(0)
	v_ashrrev_i32_e32 v2, 31, v0
	v_add_co_u32_e32 v0, vcc, s10, v0
	v_addc_co_u32_e32 v1, vcc, v1, v2, vcc
	s_cbranch_scc1 .LBB18_805
; %bb.799:
	s_cmp_gt_i32 s43, 25
	s_cbranch_scc0 .LBB18_806
; %bb.800:
	s_cmp_gt_i32 s43, 28
	s_cbranch_scc0 .LBB18_807
	;; [unrolled: 3-line block ×4, first 2 shown]
; %bb.803:
	s_cmp_eq_u32 s43, 46
	s_mov_b64 s[38:39], 0
	s_cbranch_scc0 .LBB18_814
; %bb.804:
	global_load_dword v2, v[0:1], off
	s_mov_b64 s[36:37], -1
	s_waitcnt vmcnt(0)
	v_lshlrev_b32_e32 v4, 16, v2
	s_branch .LBB18_816
.LBB18_805:
	s_mov_b64 s[38:39], -1
                                        ; implicit-def: $vgpr4
	s_mov_b64 s[30:31], s[0:1]
	s_branch .LBB18_879
.LBB18_806:
	s_mov_b64 s[38:39], -1
	s_mov_b64 s[30:31], s[0:1]
                                        ; implicit-def: $vgpr4
	s_branch .LBB18_845
.LBB18_807:
	s_mov_b64 s[38:39], -1
	s_mov_b64 s[30:31], s[0:1]
                                        ; implicit-def: $vgpr4
	s_branch .LBB18_826
.LBB18_808:
	s_mov_b64 s[38:39], -1
	s_mov_b64 s[30:31], s[0:1]
                                        ; implicit-def: $vgpr4
	s_branch .LBB18_821
.LBB18_809:
	s_andn2_saveexec_b64 s[34:35], s[34:35]
	s_cbranch_execz .LBB18_705
.LBB18_810:
	s_mov_b32 s39, 0x46000000
	v_add_f32_e64 v1, |v0|, s39
	v_and_b32_e32 v1, 0xff, v1
	v_cmp_ne_u32_e32 vcc, 0, v1
	s_andn2_b64 s[30:31], s[30:31], exec
	s_and_b64 s[40:41], vcc, exec
	s_or_b64 s[30:31], s[30:31], s[40:41]
	s_or_b64 exec, exec, s[34:35]
	v_mov_b32_e32 v4, 0
	s_and_saveexec_b64 s[34:35], s[30:31]
	s_cbranch_execnz .LBB18_706
	s_branch .LBB18_707
.LBB18_811:
	s_mov_b64 s[38:39], -1
	s_mov_b64 s[30:31], s[0:1]
	s_branch .LBB18_815
.LBB18_812:
	s_andn2_saveexec_b64 s[34:35], s[34:35]
	s_cbranch_execz .LBB18_718
.LBB18_813:
	s_mov_b32 s39, 0x42800000
	v_add_f32_e64 v1, |v0|, s39
	v_and_b32_e32 v1, 0xff, v1
	v_cmp_ne_u32_e32 vcc, 0, v1
	s_andn2_b64 s[30:31], s[30:31], exec
	s_and_b64 s[40:41], vcc, exec
	s_or_b64 s[30:31], s[30:31], s[40:41]
	s_or_b64 exec, exec, s[34:35]
	v_mov_b32_e32 v4, 0
	s_and_saveexec_b64 s[34:35], s[30:31]
	s_cbranch_execnz .LBB18_719
	s_branch .LBB18_720
.LBB18_814:
	s_mov_b64 s[30:31], -1
.LBB18_815:
                                        ; implicit-def: $vgpr4
.LBB18_816:
	s_and_b64 vcc, exec, s[38:39]
	s_cbranch_vccz .LBB18_820
; %bb.817:
	s_cmp_eq_u32 s43, 44
	s_cbranch_scc0 .LBB18_819
; %bb.818:
	global_load_ubyte v2, v[0:1], off
	s_movk_i32 s36, 0xff
	v_mov_b32_e32 v3, 0x7f800001
	v_mov_b32_e32 v4, 0x400000
	s_mov_b64 s[30:31], 0
	s_waitcnt vmcnt(0)
	v_lshlrev_b32_e32 v5, 23, v2
	v_cmp_ne_u32_e32 vcc, s36, v2
	v_cndmask_b32_e32 v3, v3, v5, vcc
	v_cmp_ne_u32_e32 vcc, 0, v2
	v_cndmask_b32_e32 v4, v4, v3, vcc
	s_mov_b64 s[36:37], -1
	s_branch .LBB18_820
.LBB18_819:
	s_mov_b64 s[30:31], -1
                                        ; implicit-def: $vgpr4
.LBB18_820:
	s_mov_b64 s[38:39], 0
.LBB18_821:
	s_and_b64 vcc, exec, s[38:39]
	s_cbranch_vccz .LBB18_825
; %bb.822:
	s_cmp_eq_u32 s43, 29
	s_cbranch_scc0 .LBB18_824
; %bb.823:
	global_load_dwordx2 v[2:3], v[0:1], off
	s_mov_b64 s[30:31], 0
	s_mov_b64 s[36:37], -1
	s_mov_b64 s[38:39], 0
	s_waitcnt vmcnt(0)
	v_ffbh_u32_e32 v4, v3
	v_min_u32_e32 v4, 32, v4
	v_lshlrev_b64 v[2:3], v4, v[2:3]
	v_min_u32_e32 v2, 1, v2
	v_or_b32_e32 v2, v3, v2
	v_cvt_f32_u32_e32 v2, v2
	v_sub_u32_e32 v3, 32, v4
	v_ldexp_f32 v4, v2, v3
	s_branch .LBB18_826
.LBB18_824:
	s_mov_b64 s[30:31], -1
                                        ; implicit-def: $vgpr4
.LBB18_825:
	s_mov_b64 s[38:39], 0
.LBB18_826:
	s_and_b64 vcc, exec, s[38:39]
	s_cbranch_vccz .LBB18_844
; %bb.827:
	s_cmp_lt_i32 s43, 27
	s_cbranch_scc1 .LBB18_830
; %bb.828:
	s_cmp_gt_i32 s43, 27
	s_cbranch_scc0 .LBB18_831
; %bb.829:
	global_load_dword v2, v[0:1], off
	s_mov_b64 s[36:37], 0
	s_waitcnt vmcnt(0)
	v_cvt_f32_u32_e32 v4, v2
	s_branch .LBB18_832
.LBB18_830:
	s_mov_b64 s[36:37], -1
                                        ; implicit-def: $vgpr4
	s_branch .LBB18_835
.LBB18_831:
	s_mov_b64 s[36:37], -1
                                        ; implicit-def: $vgpr4
.LBB18_832:
	s_andn2_b64 vcc, exec, s[36:37]
	s_cbranch_vccnz .LBB18_834
; %bb.833:
	global_load_ushort v2, v[0:1], off
	s_waitcnt vmcnt(0)
	v_cvt_f32_u32_e32 v4, v2
.LBB18_834:
	s_mov_b64 s[36:37], 0
.LBB18_835:
	s_andn2_b64 vcc, exec, s[36:37]
	s_cbranch_vccnz .LBB18_843
; %bb.836:
	global_load_ubyte v2, v[0:1], off
	s_movk_i32 s36, 0x7f
	s_waitcnt vmcnt(0)
	v_cmp_lt_i16_e32 vcc, s36, v2
	s_mov_b64 s[36:37], 0
	s_and_saveexec_b64 s[38:39], vcc
	s_xor_b64 s[38:39], exec, s[38:39]
	s_cbranch_execz .LBB18_857
; %bb.837:
	s_movk_i32 s36, 0x80
	v_cmp_eq_u16_e32 vcc, s36, v2
	s_mov_b64 s[36:37], -1
	s_and_saveexec_b64 s[40:41], vcc
; %bb.838:
	s_xor_b64 s[36:37], exec, -1
; %bb.839:
	s_or_b64 exec, exec, s[40:41]
	s_and_b64 s[36:37], s[36:37], exec
	s_or_saveexec_b64 s[38:39], s[38:39]
	v_mov_b32_e32 v4, 0x7f800001
	s_xor_b64 exec, exec, s[38:39]
	s_cbranch_execnz .LBB18_858
.LBB18_840:
	s_or_b64 exec, exec, s[38:39]
	s_and_saveexec_b64 s[38:39], s[36:37]
	s_cbranch_execz .LBB18_842
.LBB18_841:
	v_lshlrev_b32_e32 v3, 24, v2
	v_and_b32_e32 v2, 0xffff, v2
	v_and_b32_e32 v4, 7, v2
	v_ffbh_u32_e32 v6, v4
	v_min_u32_e32 v6, 32, v6
	v_subrev_u32_e32 v8, 28, v6
	v_bfe_u32 v5, v2, 3, 4
	v_lshlrev_b32_e32 v2, v8, v2
	v_sub_u32_e32 v6, 29, v6
	v_and_b32_e32 v2, 7, v2
	v_cmp_eq_u32_e32 vcc, 0, v5
	v_cndmask_b32_e32 v5, v5, v6, vcc
	v_cndmask_b32_e32 v2, v4, v2, vcc
	v_mov_b32_e32 v4, 0x3b800000
	v_lshlrev_b32_e32 v2, 20, v2
	v_and_b32_e32 v3, 0x80000000, v3
	v_lshl_add_u32 v4, v5, 23, v4
	v_or3_b32 v4, v3, v4, v2
.LBB18_842:
	s_or_b64 exec, exec, s[38:39]
.LBB18_843:
	s_mov_b64 s[36:37], -1
.LBB18_844:
	s_mov_b64 s[38:39], 0
.LBB18_845:
	s_and_b64 vcc, exec, s[38:39]
	s_cbranch_vccz .LBB18_878
; %bb.846:
	s_cmp_gt_i32 s43, 22
	s_cbranch_scc0 .LBB18_856
; %bb.847:
	s_cmp_lt_i32 s43, 24
	s_cbranch_scc1 .LBB18_859
; %bb.848:
	s_cmp_gt_i32 s43, 24
	s_cbranch_scc0 .LBB18_860
; %bb.849:
	global_load_ubyte v2, v[0:1], off
	s_movk_i32 s34, 0x7f
	s_waitcnt vmcnt(0)
	v_cmp_lt_i16_e32 vcc, s34, v2
	s_mov_b64 s[34:35], 0
	s_and_saveexec_b64 s[36:37], vcc
	s_xor_b64 s[36:37], exec, s[36:37]
	s_cbranch_execz .LBB18_872
; %bb.850:
	s_movk_i32 s34, 0x80
	v_cmp_eq_u16_e32 vcc, s34, v2
	s_mov_b64 s[34:35], -1
	s_and_saveexec_b64 s[38:39], vcc
; %bb.851:
	s_xor_b64 s[34:35], exec, -1
; %bb.852:
	s_or_b64 exec, exec, s[38:39]
	s_and_b64 s[34:35], s[34:35], exec
	s_or_saveexec_b64 s[36:37], s[36:37]
	v_mov_b32_e32 v4, 0x7f800001
	s_xor_b64 exec, exec, s[36:37]
	s_cbranch_execnz .LBB18_873
.LBB18_853:
	s_or_b64 exec, exec, s[36:37]
	s_and_saveexec_b64 s[36:37], s[34:35]
	s_cbranch_execz .LBB18_855
.LBB18_854:
	v_lshlrev_b32_e32 v3, 24, v2
	v_and_b32_e32 v2, 0xffff, v2
	v_and_b32_e32 v4, 3, v2
	v_ffbh_u32_e32 v6, v4
	v_min_u32_e32 v6, 32, v6
	v_subrev_u32_e32 v8, 29, v6
	v_bfe_u32 v5, v2, 2, 5
	v_lshlrev_b32_e32 v2, v8, v2
	v_sub_u32_e32 v6, 30, v6
	v_and_b32_e32 v2, 3, v2
	v_cmp_eq_u32_e32 vcc, 0, v5
	v_cndmask_b32_e32 v5, v5, v6, vcc
	v_cndmask_b32_e32 v2, v4, v2, vcc
	v_mov_b32_e32 v4, 0x37800000
	v_lshlrev_b32_e32 v2, 21, v2
	v_and_b32_e32 v3, 0x80000000, v3
	v_lshl_add_u32 v4, v5, 23, v4
	v_or3_b32 v4, v3, v4, v2
.LBB18_855:
	s_or_b64 exec, exec, s[36:37]
	s_mov_b64 s[34:35], 0
	s_branch .LBB18_861
.LBB18_856:
	s_mov_b64 s[34:35], -1
                                        ; implicit-def: $vgpr4
	s_branch .LBB18_867
.LBB18_857:
	s_or_saveexec_b64 s[38:39], s[38:39]
	v_mov_b32_e32 v4, 0x7f800001
	s_xor_b64 exec, exec, s[38:39]
	s_cbranch_execz .LBB18_840
.LBB18_858:
	v_cmp_ne_u16_e32 vcc, 0, v2
	s_andn2_b64 s[36:37], s[36:37], exec
	s_and_b64 s[40:41], vcc, exec
	v_mov_b32_e32 v4, 0
	s_or_b64 s[36:37], s[36:37], s[40:41]
	s_or_b64 exec, exec, s[38:39]
	s_and_saveexec_b64 s[38:39], s[36:37]
	s_cbranch_execnz .LBB18_841
	s_branch .LBB18_842
.LBB18_859:
	s_mov_b64 s[34:35], -1
                                        ; implicit-def: $vgpr4
	s_branch .LBB18_864
.LBB18_860:
	s_mov_b64 s[34:35], -1
                                        ; implicit-def: $vgpr4
.LBB18_861:
	s_and_b64 vcc, exec, s[34:35]
	s_cbranch_vccz .LBB18_863
; %bb.862:
	global_load_ubyte v2, v[0:1], off
	s_mov_b32 s34, 0x7f800000
	s_waitcnt vmcnt(0)
	v_lshlrev_b32_e32 v2, 24, v2
	v_and_b32_e32 v3, 0x7f000000, v2
	v_ffbh_u32_e32 v4, v3
	v_min_u32_e32 v4, 32, v4
	v_sub_u32_e64 v4, v4, 4 clamp
	v_lshlrev_b32_e32 v6, v4, v3
	v_lshlrev_b32_e32 v4, 23, v4
	v_lshrrev_b32_e32 v6, 4, v6
	v_add_u32_e32 v5, 0x1000000, v3
	v_sub_u32_e32 v4, v6, v4
	v_ashrrev_i32_e32 v5, 8, v5
	v_add_u32_e32 v4, 0x3c000000, v4
	v_and_or_b32 v4, v5, s34, v4
	v_cmp_ne_u32_e32 vcc, 0, v3
	v_cndmask_b32_e32 v3, 0, v4, vcc
	s_brev_b32 s34, 1
	v_and_or_b32 v4, v2, s34, v3
.LBB18_863:
	s_mov_b64 s[34:35], 0
.LBB18_864:
	s_andn2_b64 vcc, exec, s[34:35]
	s_cbranch_vccnz .LBB18_866
; %bb.865:
	global_load_ubyte v2, v[0:1], off
	s_movk_i32 s34, 0x7f00
	s_brev_b32 s35, 16
	s_waitcnt vmcnt(0)
	v_lshlrev_b16_e32 v3, 8, v2
	v_lshlrev_b32_e32 v2, 25, v2
	v_lshrrev_b32_e32 v4, 4, v2
	v_and_or_b32 v5, v3, s34, 0.5
	v_or_b32_e32 v4, 0x70000000, v4
	v_add_f32_e32 v5, -0.5, v5
	v_mul_f32_e32 v4, 0x7800000, v4
	v_cmp_gt_u32_e32 vcc, s35, v2
	v_bfe_i32 v3, v3, 0, 16
	v_cndmask_b32_e32 v2, v4, v5, vcc
	s_brev_b32 s34, 1
	v_and_or_b32 v4, v3, s34, v2
.LBB18_866:
	s_mov_b64 s[34:35], 0
	s_mov_b64 s[36:37], -1
.LBB18_867:
	s_andn2_b64 vcc, exec, s[34:35]
	s_mov_b64 s[34:35], 0
	s_cbranch_vccnz .LBB18_878
; %bb.868:
	s_cmp_gt_i32 s43, 14
	s_cbranch_scc0 .LBB18_871
; %bb.869:
	s_cmp_eq_u32 s43, 15
	s_cbranch_scc0 .LBB18_874
; %bb.870:
	global_load_ushort v2, v[0:1], off
	s_mov_b64 s[30:31], 0
	s_mov_b64 s[36:37], -1
	s_waitcnt vmcnt(0)
	v_lshlrev_b32_e32 v4, 16, v2
	s_branch .LBB18_875
.LBB18_871:
	s_mov_b64 s[38:39], -1
                                        ; implicit-def: $vgpr4
	s_branch .LBB18_876
.LBB18_872:
	s_or_saveexec_b64 s[36:37], s[36:37]
	v_mov_b32_e32 v4, 0x7f800001
	s_xor_b64 exec, exec, s[36:37]
	s_cbranch_execz .LBB18_853
.LBB18_873:
	v_cmp_ne_u16_e32 vcc, 0, v2
	s_andn2_b64 s[34:35], s[34:35], exec
	s_and_b64 s[38:39], vcc, exec
	v_mov_b32_e32 v4, 0
	s_or_b64 s[34:35], s[34:35], s[38:39]
	s_or_b64 exec, exec, s[36:37]
	s_and_saveexec_b64 s[36:37], s[34:35]
	s_cbranch_execnz .LBB18_854
	s_branch .LBB18_855
.LBB18_874:
	s_mov_b64 s[30:31], -1
                                        ; implicit-def: $vgpr4
.LBB18_875:
	s_mov_b64 s[38:39], 0
.LBB18_876:
	s_and_b64 vcc, exec, s[38:39]
	s_cbranch_vccz .LBB18_878
; %bb.877:
	s_cmp_lg_u32 s43, 11
	s_cselect_b64 s[38:39], -1, 0
	s_andn2_b64 s[30:31], s[30:31], exec
	s_and_b64 s[38:39], s[38:39], exec
	s_mov_b64 s[34:35], -1
	s_or_b64 s[30:31], s[30:31], s[38:39]
.LBB18_878:
	s_mov_b64 s[38:39], 0
.LBB18_879:
	s_and_b64 s[40:41], s[38:39], exec
	s_andn2_b64 s[38:39], s[0:1], exec
	s_and_b64 s[30:31], s[30:31], exec
	s_and_b64 s[36:37], s[36:37], exec
	;; [unrolled: 1-line block ×3, first 2 shown]
	s_or_b64 s[38:39], s[38:39], s[30:31]
.LBB18_880:
	s_or_b64 exec, exec, s[26:27]
	s_and_b64 s[30:31], s[34:35], exec
	s_andn2_b64 s[0:1], s[0:1], exec
	s_and_b64 s[34:35], s[38:39], exec
	s_and_b64 s[36:37], s[36:37], exec
	s_and_b64 s[26:27], s[40:41], exec
	s_or_b64 s[0:1], s[0:1], s[34:35]
.LBB18_881:
	s_or_b64 exec, exec, s[24:25]
	s_andn2_b64 s[20:21], s[20:21], exec
	s_and_b64 s[24:25], s[28:29], exec
	s_andn2_b64 s[18:19], s[18:19], exec
	s_and_b64 s[0:1], s[0:1], exec
	s_or_b64 s[20:21], s[20:21], s[24:25]
	s_and_b64 s[28:29], s[36:37], exec
	s_and_b64 s[26:27], s[26:27], exec
	;; [unrolled: 1-line block ×3, first 2 shown]
	s_or_b64 s[18:19], s[18:19], s[0:1]
.LBB18_882:
	s_or_b64 exec, exec, s[22:23]
	s_andn2_b64 s[0:1], s[6:7], exec
	s_and_b64 s[6:7], s[20:21], exec
	s_andn2_b64 s[14:15], s[14:15], exec
	s_and_b64 s[18:19], s[18:19], exec
	s_or_b64 s[6:7], s[0:1], s[6:7]
	s_and_b64 s[0:1], s[28:29], exec
	s_and_b64 s[22:23], s[26:27], exec
	;; [unrolled: 1-line block ×3, first 2 shown]
	s_or_b64 s[14:15], s[14:15], s[18:19]
	s_or_b64 exec, exec, s[16:17]
	s_mov_b64 s[16:17], 0
	s_and_saveexec_b64 s[18:19], s[14:15]
	s_cbranch_execz .LBB18_270
.LBB18_883:
	s_mov_b64 s[16:17], exec
	s_andn2_b64 s[20:21], s[20:21], exec
	s_trap 2
	s_or_b64 exec, exec, s[18:19]
	s_and_saveexec_b64 s[14:15], s[20:21]
	s_xor_b64 s[14:15], exec, s[14:15]
	s_cbranch_execnz .LBB18_271
.LBB18_884:
	s_or_b64 exec, exec, s[14:15]
	s_and_saveexec_b64 s[14:15], s[22:23]
	s_cbranch_execz .LBB18_930
.LBB18_885:
	s_sext_i32_i16 s18, s42
	s_cmp_lt_i32 s18, 5
	s_cbranch_scc1 .LBB18_890
; %bb.886:
	s_cmp_lt_i32 s18, 8
	s_cbranch_scc1 .LBB18_891
; %bb.887:
	;; [unrolled: 3-line block ×3, first 2 shown]
	s_cmp_gt_i32 s18, 9
	s_cbranch_scc0 .LBB18_893
; %bb.889:
	global_load_dwordx2 v[2:3], v[0:1], off
	s_mov_b64 s[18:19], 0
	s_waitcnt vmcnt(0)
	v_cvt_f32_f64_e32 v4, v[2:3]
	s_branch .LBB18_894
.LBB18_890:
                                        ; implicit-def: $vgpr4
	s_branch .LBB18_911
.LBB18_891:
                                        ; implicit-def: $vgpr4
	s_branch .LBB18_900
.LBB18_892:
	s_mov_b64 s[18:19], -1
                                        ; implicit-def: $vgpr4
	s_branch .LBB18_897
.LBB18_893:
	s_mov_b64 s[18:19], -1
                                        ; implicit-def: $vgpr4
.LBB18_894:
	s_andn2_b64 vcc, exec, s[18:19]
	s_cbranch_vccnz .LBB18_896
; %bb.895:
	global_load_dword v4, v[0:1], off
.LBB18_896:
	s_mov_b64 s[18:19], 0
.LBB18_897:
	s_andn2_b64 vcc, exec, s[18:19]
	s_cbranch_vccnz .LBB18_899
; %bb.898:
	global_load_dword v2, v[0:1], off
	s_waitcnt vmcnt(0)
	v_cvt_f32_f16_e32 v4, v2
.LBB18_899:
	s_cbranch_execnz .LBB18_910
.LBB18_900:
	s_sext_i32_i16 s18, s42
	s_cmp_lt_i32 s18, 6
	s_cbranch_scc1 .LBB18_903
; %bb.901:
	s_cmp_gt_i32 s18, 6
	s_cbranch_scc0 .LBB18_904
; %bb.902:
	global_load_dwordx2 v[2:3], v[0:1], off
	s_mov_b64 s[18:19], 0
	s_waitcnt vmcnt(0)
	v_cvt_f32_f64_e32 v4, v[2:3]
	s_branch .LBB18_905
.LBB18_903:
	s_mov_b64 s[18:19], -1
                                        ; implicit-def: $vgpr4
	s_branch .LBB18_908
.LBB18_904:
	s_mov_b64 s[18:19], -1
                                        ; implicit-def: $vgpr4
.LBB18_905:
	s_andn2_b64 vcc, exec, s[18:19]
	s_cbranch_vccnz .LBB18_907
; %bb.906:
	global_load_dword v4, v[0:1], off
.LBB18_907:
	s_mov_b64 s[18:19], 0
.LBB18_908:
	s_andn2_b64 vcc, exec, s[18:19]
	s_cbranch_vccnz .LBB18_910
; %bb.909:
	global_load_ushort v2, v[0:1], off
	s_waitcnt vmcnt(0)
	v_cvt_f32_f16_e32 v4, v2
.LBB18_910:
	s_cbranch_execnz .LBB18_929
.LBB18_911:
	s_sext_i32_i16 s18, s42
	s_cmp_lt_i32 s18, 2
	s_cbranch_scc1 .LBB18_915
; %bb.912:
	s_cmp_lt_i32 s18, 3
	s_cbranch_scc1 .LBB18_916
; %bb.913:
	s_cmp_gt_i32 s18, 3
	s_cbranch_scc0 .LBB18_917
; %bb.914:
	global_load_dwordx2 v[2:3], v[0:1], off
	s_mov_b64 s[18:19], 0
	s_waitcnt vmcnt(0)
	v_xor_b32_e32 v5, v2, v3
	v_ffbh_i32_e32 v4, v3
	v_ashrrev_i32_e32 v5, 31, v5
	v_add_u32_e32 v4, -1, v4
	v_add_u32_e32 v5, 32, v5
	v_min_u32_e32 v4, v4, v5
	v_lshlrev_b64 v[2:3], v4, v[2:3]
	v_min_u32_e32 v2, 1, v2
	v_or_b32_e32 v2, v3, v2
	v_cvt_f32_i32_e32 v2, v2
	v_sub_u32_e32 v3, 32, v4
	v_ldexp_f32 v4, v2, v3
	s_branch .LBB18_918
.LBB18_915:
                                        ; implicit-def: $vgpr4
	s_branch .LBB18_924
.LBB18_916:
	s_mov_b64 s[18:19], -1
                                        ; implicit-def: $vgpr4
	s_branch .LBB18_921
.LBB18_917:
	s_mov_b64 s[18:19], -1
                                        ; implicit-def: $vgpr4
.LBB18_918:
	s_andn2_b64 vcc, exec, s[18:19]
	s_cbranch_vccnz .LBB18_920
; %bb.919:
	global_load_dword v2, v[0:1], off
	s_waitcnt vmcnt(0)
	v_cvt_f32_i32_e32 v4, v2
.LBB18_920:
	s_mov_b64 s[18:19], 0
.LBB18_921:
	s_andn2_b64 vcc, exec, s[18:19]
	s_cbranch_vccnz .LBB18_923
; %bb.922:
	global_load_sshort v2, v[0:1], off
	s_waitcnt vmcnt(0)
	v_cvt_f32_i32_e32 v4, v2
.LBB18_923:
	s_cbranch_execnz .LBB18_929
.LBB18_924:
	s_sext_i32_i16 s18, s42
	s_cmp_gt_i32 s18, 0
	s_cbranch_scc0 .LBB18_926
; %bb.925:
	global_load_sbyte v2, v[0:1], off
	s_mov_b64 s[18:19], 0
	s_waitcnt vmcnt(0)
	v_cvt_f32_i32_e32 v4, v2
	s_branch .LBB18_927
.LBB18_926:
	s_mov_b64 s[18:19], -1
                                        ; implicit-def: $vgpr4
.LBB18_927:
	s_andn2_b64 vcc, exec, s[18:19]
	s_cbranch_vccnz .LBB18_929
; %bb.928:
	global_load_ubyte v0, v[0:1], off
	s_waitcnt vmcnt(0)
	v_cvt_f32_ubyte0_e32 v4, v0
.LBB18_929:
	s_or_b64 s[0:1], s[0:1], exec
.LBB18_930:
	s_or_b64 exec, exec, s[14:15]
	s_mov_b64 s[20:21], 0
	s_mov_b64 s[18:19], 0
                                        ; implicit-def: $sgpr26
                                        ; implicit-def: $vgpr2_vgpr3
                                        ; implicit-def: $vgpr0
	s_and_saveexec_b64 s[14:15], s[0:1]
	s_cbranch_execz .LBB18_956
; %bb.931:
	s_waitcnt vmcnt(0)
	v_cmp_neq_f32_e32 vcc, 0, v4
	v_mov_b32_e32 v0, 0x7f800000
	s_and_saveexec_b64 s[18:19], vcc
	s_cbranch_execz .LBB18_939
; %bb.932:
	v_cmp_ngt_f32_e32 vcc, 0, v4
	v_mov_b32_e32 v0, 0x7fc00000
	s_and_saveexec_b64 s[20:21], vcc
	s_cbranch_execz .LBB18_938
; %bb.933:
	v_cmp_ge_f32_e32 vcc, 2.0, v4
                                        ; implicit-def: $vgpr0
	s_and_saveexec_b64 s[0:1], vcc
	s_xor_b64 s[22:23], exec, s[0:1]
	s_cbranch_execz .LBB18_935
; %bb.934:
	v_fma_f32 v0, v4, v4, -2.0
	v_mov_b32_e32 v1, 0x293fd856
	v_fmac_f32_e32 v1, 0x251e770f, v0
	v_mov_b32_e32 v2, 0xa51e770f
	v_fmac_f32_e32 v2, v0, v1
	v_add_f32_e32 v2, 0x2d3612e2, v2
	v_fma_f32 v1, v0, v2, -v1
	v_add_f32_e32 v1, 0x3102e09b, v1
	v_fma_f32 v2, v0, v1, -v2
	;; [unrolled: 2-line block ×7, first 2 shown]
	v_mul_f32_e32 v2, 0.5, v4
	s_mov_b32 s0, 0x800000
	v_cmp_gt_f32_e32 vcc, s0, v2
	v_cndmask_b32_e64 v3, 0, 32, vcc
	v_ldexp_f32 v2, v2, v3
	v_log_f32_e32 v2, v2
	v_add_f32_e32 v0, 0xbf090b37, v0
	v_sub_f32_e32 v0, v0, v1
	s_mov_b32 s0, 0x3f317217
	v_mul_f32_e32 v1, 0x3f317217, v2
	v_fma_f32 v1, v2, s0, -v1
	v_fmac_f32_e32 v1, 0x3377d1cf, v2
	s_mov_b32 s0, 0x7f800000
	v_fmac_f32_e32 v1, 0x3f317217, v2
	v_cmp_lt_f32_e64 s[0:1], |v2|, s0
	v_cndmask_b32_e64 v1, v2, v1, s[0:1]
	v_mul_f32_e32 v2, 0x3fb8aa3b, v4
	s_mov_b32 s0, 0x3fb8aa3b
	v_rndne_f32_e32 v3, v2
	v_sub_f32_e32 v5, v2, v3
	v_fma_f32 v2, v4, s0, -v2
	v_fmac_f32_e32 v2, 0x32a5705f, v4
	v_add_f32_e32 v2, v5, v2
	v_exp_f32_e32 v2, v2
	v_cvt_i32_f32_e32 v3, v3
	v_mov_b32_e32 v5, 0x41b17218
	s_mov_b32 s0, 0xc2ce8ed0
	v_cndmask_b32_e32 v5, 0, v5, vcc
	v_ldexp_f32 v2, v2, v3
	v_cmp_ngt_f32_e32 vcc, s0, v4
	s_mov_b32 s0, 0x42b17218
	v_cndmask_b32_e32 v2, 0, v2, vcc
	v_mov_b32_e32 v3, 0x7f800000
	v_cmp_nlt_f32_e32 vcc, s0, v4
	v_cndmask_b32_e32 v2, v3, v2, vcc
	v_fma_f32 v3, v4, 0.5, -2.0
	v_mov_b32_e32 v4, 0x24199b15
	v_sub_f32_e32 v1, v1, v5
	v_fmac_f32_e32 v4, 0xa2a2e5b9, v3
	v_mov_b32_e32 v5, 0x22a2e5b9
	v_fmac_f32_e32 v5, v3, v4
	v_add_f32_e32 v5, 0xa58c275c, v5
	v_fma_f32 v4, v3, v5, -v4
	v_add_f32_e32 v4, 0x26f736c5, v4
	v_fma_f32 v5, v3, v4, -v5
	;; [unrolled: 2-line block ×27, first 2 shown]
	v_add_f32_e32 v3, 0x3f2d4275, v3
	v_sub_f32_e32 v3, v3, v4
	v_mul_f32_e32 v3, 0.5, v3
	v_mul_f32_e32 v3, v2, v3
	v_mul_f32_e32 v1, v1, v3
	v_fma_f32 v0, v0, 0.5, -v1
	v_mul_f32_e32 v0, v2, v0
                                        ; implicit-def: $vgpr4
.LBB18_935:
	s_andn2_saveexec_b64 s[22:23], s[22:23]
	s_cbranch_execz .LBB18_937
; %bb.936:
	s_mov_b32 s24, 0x41000000
	v_div_scale_f32 v0, s[0:1], v4, v4, s24
	v_div_scale_f32 v1, vcc, s24, v4, s24
	s_mov_b32 s0, 0xf800000
	v_mul_f32_e32 v2, 0x4f800000, v4
	v_cmp_gt_f32_e64 s[0:1], s0, v4
	v_cndmask_b32_e64 v2, v4, v2, s[0:1]
	v_sqrt_f32_e32 v5, v2
	v_add_u32_e32 v9, 1, v5
	v_fma_f32 v11, -v9, v5, v2
	v_rcp_f32_e32 v3, v0
	v_fma_f32 v6, -v0, v3, 1.0
	v_fmac_f32_e32 v3, v6, v3
	v_mul_f32_e32 v6, v1, v3
	v_fma_f32 v8, -v0, v6, v1
	v_fmac_f32_e32 v6, v8, v3
	v_fma_f32 v0, -v0, v6, v1
	v_div_fmas_f32 v0, v0, v3, v6
	v_mov_b32_e32 v1, 0xa397f665
	v_mov_b32_e32 v3, 0xa2c38d2e
	v_add_u32_e32 v8, -1, v5
	v_fma_f32 v10, -v8, v5, v2
	v_cmp_ge_f32_e32 vcc, 0, v10
	v_cndmask_b32_e32 v5, v5, v8, vcc
	v_cmp_lt_f32_e32 vcc, 0, v11
	v_cndmask_b32_e32 v5, v5, v9, vcc
	v_mov_b32_e32 v6, 0x260
	v_mul_f32_e32 v8, 0x37800000, v5
	v_cndmask_b32_e64 v5, v5, v8, s[0:1]
	v_cmp_class_f32_e32 vcc, v2, v6
	v_cndmask_b32_e32 v2, v5, v2, vcc
	v_div_fixup_f32 v0, v0, v4, s24
	v_add_f32_e32 v0, -2.0, v0
	v_fmac_f32_e32 v1, 0x22c38d2e, v0
	v_fmac_f32_e32 v3, v0, v1
	v_add_f32_e32 v3, 0x24704972, v3
	v_fma_f32 v1, v0, v3, -v1
	v_add_f32_e32 v1, 0xa5417ca4, v1
	v_fma_f32 v3, v0, v1, -v3
	;; [unrolled: 2-line block ×22, first 2 shown]
	v_add_f32_e32 v0, 0x401c2ded, v0
	v_sub_f32_e32 v0, v0, v3
	v_mul_f32_e32 v0, 0.5, v0
	v_div_scale_f32 v1, s[0:1], v2, v2, v0
	v_div_scale_f32 v3, vcc, v0, v2, v0
	v_rcp_f32_e32 v4, v1
	v_fma_f32 v5, -v1, v4, 1.0
	v_fmac_f32_e32 v4, v5, v4
	v_mul_f32_e32 v5, v3, v4
	v_fma_f32 v6, -v1, v5, v3
	v_fmac_f32_e32 v5, v6, v4
	v_fma_f32 v1, -v1, v5, v3
	v_div_fmas_f32 v1, v1, v4, v5
	v_div_fixup_f32 v0, v1, v2, v0
.LBB18_937:
	s_or_b64 exec, exec, s[22:23]
.LBB18_938:
	s_or_b64 exec, exec, s[20:21]
.LBB18_939:
	s_or_b64 exec, exec, s[18:19]
	v_mul_lo_u32 v1, v7, s2
	v_mov_b32_e32 v3, s9
	s_and_b32 s26, s33, 0xff
	s_cmp_lt_i32 s26, 11
	v_ashrrev_i32_e32 v4, 31, v1
	v_add_co_u32_e32 v2, vcc, s8, v1
	v_addc_co_u32_e32 v3, vcc, v3, v4, vcc
	s_cbranch_scc1 .LBB18_959
; %bb.940:
	s_and_b32 s27, 0xffff, s26
	s_mov_b64 s[20:21], -1
	s_cmp_gt_i32 s27, 25
	s_mov_b64 s[0:1], s[6:7]
	s_cbranch_scc0 .LBB18_977
; %bb.941:
	s_mov_b64 s[18:19], -1
	s_cmp_gt_i32 s27, 28
	s_mov_b64 s[0:1], s[6:7]
	s_cbranch_scc0 .LBB18_961
; %bb.942:
	s_cmp_gt_i32 s27, 43
	s_mov_b64 s[0:1], s[6:7]
	s_cbranch_scc0 .LBB18_953
; %bb.943:
	;; [unrolled: 4-line block ×3, first 2 shown]
	s_cmp_eq_u32 s27, 46
	s_mov_b64 s[0:1], -1
	s_cbranch_scc0 .LBB18_946
; %bb.945:
	v_bfe_u32 v1, v0, 16, 1
	s_movk_i32 s0, 0x7fff
	v_add3_u32 v1, v0, v1, s0
	v_cmp_o_f32_e32 vcc, v0, v0
	v_mov_b32_e32 v4, 0x7fc0
	v_cndmask_b32_sdwa v1, v4, v1, vcc dst_sel:DWORD dst_unused:UNUSED_PAD src0_sel:DWORD src1_sel:WORD_1
	global_store_dword v[2:3], v1, off
	s_mov_b64 s[0:1], 0
.LBB18_946:
	s_mov_b64 s[18:19], 0
.LBB18_947:
	s_and_b64 vcc, exec, s[18:19]
	s_cbranch_vccz .LBB18_952
; %bb.948:
	s_cmp_eq_u32 s27, 44
	s_mov_b64 s[0:1], -1
	s_cbranch_scc0 .LBB18_952
; %bb.949:
	v_bfe_u32 v1, v0, 23, 8
	s_movk_i32 s0, 0xff
	v_cmp_ne_u32_e32 vcc, s0, v1
	v_mov_b32_e32 v4, 0xff
	s_and_saveexec_b64 s[18:19], vcc
; %bb.950:
	s_mov_b32 s0, 0x3fffff
	v_and_b32_e32 v5, 0x400000, v0
	v_and_or_b32 v1, v0, s0, v1
	v_cmp_ne_u32_e32 vcc, 0, v5
	v_cmp_ne_u32_e64 s[0:1], 0, v1
	s_and_b64 s[0:1], vcc, s[0:1]
	v_lshrrev_b32_e32 v4, 23, v0
	v_cndmask_b32_e64 v1, 0, 1, s[0:1]
	v_add_u32_e32 v4, v4, v1
; %bb.951:
	s_or_b64 exec, exec, s[18:19]
	s_mov_b64 s[0:1], 0
	global_store_byte v[2:3], v4, off
.LBB18_952:
	s_mov_b64 s[18:19], 0
.LBB18_953:
	s_and_b64 vcc, exec, s[18:19]
	s_cbranch_vccz .LBB18_960
; %bb.954:
	s_cmp_eq_u32 s27, 29
	s_mov_b64 s[0:1], -1
	s_cbranch_scc0 .LBB18_960
; %bb.955:
	v_trunc_f32_e32 v1, v0
	v_mul_f32_e32 v4, 0x2f800000, v1
	v_floor_f32_e32 v4, v4
	v_fmac_f32_e32 v1, 0xcf800000, v4
	v_cvt_u32_f32_e32 v5, v4
	v_cvt_u32_f32_e32 v4, v1
	s_mov_b64 s[0:1], 0
	s_mov_b64 s[18:19], 0
	global_store_dwordx2 v[2:3], v[4:5], off
	s_branch .LBB18_961
.LBB18_956:
	s_or_b64 exec, exec, s[14:15]
	s_and_saveexec_b64 s[0:1], s[6:7]
	s_cbranch_execnz .LBB18_1019
.LBB18_957:
	s_or_b64 exec, exec, s[0:1]
	s_and_saveexec_b64 s[0:1], s[20:21]
	s_xor_b64 s[0:1], exec, s[0:1]
	s_cbranch_execz .LBB18_1020
.LBB18_958:
	v_cmp_neq_f32_e32 vcc, 0, v0
	v_cndmask_b32_e64 v1, 0, 1, vcc
	s_waitcnt vmcnt(0)
	global_store_byte v[2:3], v1, off
	s_or_b64 exec, exec, s[0:1]
	s_and_saveexec_b64 s[0:1], s[18:19]
	s_xor_b64 s[0:1], exec, s[0:1]
	s_cbranch_execz .LBB18_1058
	s_branch .LBB18_1021
.LBB18_959:
	s_mov_b64 s[20:21], 0
	s_mov_b64 s[18:19], -1
	s_mov_b64 s[0:1], s[6:7]
	s_branch .LBB18_1018
.LBB18_960:
	s_mov_b64 s[18:19], 0
.LBB18_961:
	s_and_b64 vcc, exec, s[18:19]
	s_cbranch_vccz .LBB18_976
; %bb.962:
	s_cmp_lt_i32 s27, 27
	s_mov_b64 s[18:19], -1
	s_cbranch_scc1 .LBB18_968
; %bb.963:
	v_cvt_u32_f32_e32 v1, v0
	s_cmp_gt_i32 s27, 27
	s_cbranch_scc0 .LBB18_965
; %bb.964:
	s_mov_b64 s[18:19], 0
	global_store_dword v[2:3], v1, off
.LBB18_965:
	s_andn2_b64 vcc, exec, s[18:19]
	s_cbranch_vccnz .LBB18_967
; %bb.966:
	global_store_short v[2:3], v1, off
.LBB18_967:
	s_mov_b64 s[18:19], 0
.LBB18_968:
	s_andn2_b64 vcc, exec, s[18:19]
	s_cbranch_vccnz .LBB18_976
; %bb.969:
	v_and_b32_e32 v1, 0x7fffffff, v0
	s_mov_b32 s18, 0x43800000
	v_cmp_gt_u32_e32 vcc, s18, v1
	v_mov_b32_e32 v4, 0x80
	s_and_saveexec_b64 s[18:19], vcc
	s_cbranch_execz .LBB18_975
; %bb.970:
	s_mov_b32 s20, 0x3bffffff
	v_cmp_lt_u32_e32 vcc, s20, v1
	s_mov_b64 s[20:21], 0
                                        ; implicit-def: $vgpr1
	s_and_saveexec_b64 s[22:23], vcc
	s_xor_b64 s[22:23], exec, s[22:23]
	s_cbranch_execz .LBB18_1073
; %bb.971:
	v_bfe_u32 v1, v0, 20, 1
	s_mov_b32 s24, 0x487ffff
	v_add3_u32 v1, v0, v1, s24
	s_mov_b64 s[20:21], exec
	v_lshrrev_b32_e32 v1, 20, v1
	s_andn2_saveexec_b64 s[22:23], s[22:23]
	s_cbranch_execnz .LBB18_1074
.LBB18_972:
	s_or_b64 exec, exec, s[22:23]
	v_mov_b32_e32 v4, 0
	s_and_saveexec_b64 s[22:23], s[20:21]
.LBB18_973:
	v_lshrrev_b32_e32 v4, 24, v0
	s_movk_i32 s20, 0x80
	v_and_or_b32 v4, v4, s20, v1
.LBB18_974:
	s_or_b64 exec, exec, s[22:23]
.LBB18_975:
	s_or_b64 exec, exec, s[18:19]
	global_store_byte v[2:3], v4, off
.LBB18_976:
	s_mov_b64 s[20:21], 0
.LBB18_977:
	s_mov_b64 s[18:19], 0
	s_and_b64 vcc, exec, s[20:21]
	s_cbranch_vccz .LBB18_1017
; %bb.978:
	s_cmp_gt_i32 s27, 22
	s_mov_b64 s[20:21], -1
	s_cbranch_scc0 .LBB18_1010
; %bb.979:
	s_cmp_lt_i32 s27, 24
	s_cbranch_scc1 .LBB18_999
; %bb.980:
	s_cmp_gt_i32 s27, 24
	s_cbranch_scc0 .LBB18_988
; %bb.981:
	v_and_b32_e32 v1, 0x7fffffff, v0
	s_mov_b32 s20, 0x47800000
	v_cmp_gt_u32_e32 vcc, s20, v1
	v_mov_b32_e32 v4, 0x80
	s_and_saveexec_b64 s[20:21], vcc
	s_cbranch_execz .LBB18_987
; %bb.982:
	s_mov_b32 s22, 0x37ffffff
	v_cmp_lt_u32_e32 vcc, s22, v1
	s_mov_b64 s[22:23], 0
                                        ; implicit-def: $vgpr1
	s_and_saveexec_b64 s[24:25], vcc
	s_xor_b64 s[24:25], exec, s[24:25]
	s_cbranch_execz .LBB18_1206
; %bb.983:
	v_bfe_u32 v1, v0, 21, 1
	s_mov_b32 s28, 0x88fffff
	v_add3_u32 v1, v0, v1, s28
	s_mov_b64 s[22:23], exec
	v_lshrrev_b32_e32 v1, 21, v1
	s_andn2_saveexec_b64 s[24:25], s[24:25]
	s_cbranch_execnz .LBB18_1207
.LBB18_984:
	s_or_b64 exec, exec, s[24:25]
	v_mov_b32_e32 v4, 0
	s_and_saveexec_b64 s[24:25], s[22:23]
.LBB18_985:
	v_lshrrev_b32_e32 v4, 24, v0
	s_movk_i32 s22, 0x80
	v_and_or_b32 v4, v4, s22, v1
.LBB18_986:
	s_or_b64 exec, exec, s[24:25]
.LBB18_987:
	s_or_b64 exec, exec, s[20:21]
	s_mov_b64 s[20:21], 0
	global_store_byte v[2:3], v4, off
.LBB18_988:
	s_and_b64 vcc, exec, s[20:21]
	s_cbranch_vccz .LBB18_998
; %bb.989:
	v_and_b32_e32 v4, 0x7fffffff, v0
	s_mov_b32 s20, 0x43f00000
	v_cmp_gt_u32_e32 vcc, s20, v4
                                        ; implicit-def: $vgpr1
	s_and_saveexec_b64 s[20:21], vcc
	s_xor_b64 s[20:21], exec, s[20:21]
	s_cbranch_execz .LBB18_995
; %bb.990:
	s_mov_b32 s22, 0x3c7fffff
	v_cmp_lt_u32_e32 vcc, s22, v4
                                        ; implicit-def: $vgpr1
	s_and_saveexec_b64 s[22:23], vcc
	s_xor_b64 s[22:23], exec, s[22:23]
; %bb.991:
	v_bfe_u32 v1, v0, 20, 1
	s_mov_b32 s24, 0x407ffff
	v_add3_u32 v1, v0, v1, s24
	v_lshrrev_b32_e32 v4, 20, v1
	v_and_b32_e32 v1, 0xff00000, v1
	s_mov_b32 s24, 0x7f00000
	v_mov_b32_e32 v5, 0x7e
	v_cmp_ne_u32_e32 vcc, s24, v1
	v_cndmask_b32_e32 v1, v5, v4, vcc
; %bb.992:
	s_andn2_saveexec_b64 s[22:23], s[22:23]
; %bb.993:
	s_mov_b32 s24, 0x46800000
	v_add_f32_e64 v1, |v0|, s24
; %bb.994:
	s_or_b64 exec, exec, s[22:23]
                                        ; implicit-def: $vgpr4
.LBB18_995:
	s_andn2_saveexec_b64 s[20:21], s[20:21]
; %bb.996:
	s_mov_b32 s22, 0x7f800000
	v_mov_b32_e32 v1, 0x7e
	v_mov_b32_e32 v5, 0x7f
	v_cmp_lt_u32_e32 vcc, s22, v4
	v_cndmask_b32_e32 v1, v1, v5, vcc
; %bb.997:
	s_or_b64 exec, exec, s[20:21]
	v_lshrrev_b32_e32 v4, 24, v0
	s_movk_i32 s20, 0x80
	v_and_or_b32 v1, v4, s20, v1
	global_store_byte v[2:3], v1, off
.LBB18_998:
	s_mov_b64 s[20:21], 0
.LBB18_999:
	s_andn2_b64 vcc, exec, s[20:21]
	s_cbranch_vccnz .LBB18_1009
; %bb.1000:
	v_and_b32_e32 v4, 0x7fffffff, v0
	s_mov_b32 s20, 0x47800000
	v_cmp_gt_u32_e32 vcc, s20, v4
                                        ; implicit-def: $vgpr1
	s_and_saveexec_b64 s[20:21], vcc
	s_xor_b64 s[20:21], exec, s[20:21]
	s_cbranch_execz .LBB18_1006
; %bb.1001:
	s_mov_b32 s22, 0x387fffff
	v_cmp_lt_u32_e32 vcc, s22, v4
                                        ; implicit-def: $vgpr1
	s_and_saveexec_b64 s[22:23], vcc
	s_xor_b64 s[22:23], exec, s[22:23]
; %bb.1002:
	v_bfe_u32 v1, v0, 21, 1
	s_mov_b32 s24, 0x80fffff
	v_add3_u32 v1, v0, v1, s24
	v_lshrrev_b32_e32 v1, 21, v1
; %bb.1003:
	s_andn2_saveexec_b64 s[22:23], s[22:23]
; %bb.1004:
	s_mov_b32 s24, 0x43000000
	v_add_f32_e64 v1, |v0|, s24
; %bb.1005:
	s_or_b64 exec, exec, s[22:23]
                                        ; implicit-def: $vgpr4
.LBB18_1006:
	s_andn2_saveexec_b64 s[20:21], s[20:21]
; %bb.1007:
	s_mov_b32 s22, 0x7f800000
	v_mov_b32_e32 v1, 0x7c
	v_mov_b32_e32 v5, 0x7f
	v_cmp_lt_u32_e32 vcc, s22, v4
	v_cndmask_b32_e32 v1, v1, v5, vcc
; %bb.1008:
	s_or_b64 exec, exec, s[20:21]
	v_lshrrev_b32_e32 v4, 24, v0
	s_movk_i32 s20, 0x80
	v_and_or_b32 v1, v4, s20, v1
	global_store_byte v[2:3], v1, off
.LBB18_1009:
	s_mov_b64 s[20:21], 0
.LBB18_1010:
	s_andn2_b64 vcc, exec, s[20:21]
	s_mov_b64 s[20:21], 0
	s_cbranch_vccnz .LBB18_1018
; %bb.1011:
	s_cmp_gt_i32 s27, 14
	s_mov_b64 s[22:23], -1
	s_cbranch_scc0 .LBB18_1015
; %bb.1012:
	s_cmp_eq_u32 s27, 15
	s_mov_b64 s[0:1], -1
	s_cbranch_scc0 .LBB18_1014
; %bb.1013:
	v_bfe_u32 v1, v0, 16, 1
	s_movk_i32 s0, 0x7fff
	v_add3_u32 v1, v0, v1, s0
	v_cmp_o_f32_e32 vcc, v0, v0
	v_mov_b32_e32 v4, 0x7fc0
	v_cndmask_b32_sdwa v1, v4, v1, vcc dst_sel:DWORD dst_unused:UNUSED_PAD src0_sel:DWORD src1_sel:WORD_1
	global_store_short v[2:3], v1, off
	s_mov_b64 s[0:1], 0
.LBB18_1014:
	s_mov_b64 s[22:23], 0
.LBB18_1015:
	s_and_b64 vcc, exec, s[22:23]
	s_cbranch_vccz .LBB18_1018
; %bb.1016:
	s_cmp_lg_u32 s27, 11
	s_cselect_b64 s[22:23], -1, 0
	s_andn2_b64 s[0:1], s[0:1], exec
	s_and_b64 s[22:23], s[22:23], exec
	s_mov_b64 s[20:21], -1
	s_or_b64 s[0:1], s[0:1], s[22:23]
	s_branch .LBB18_1018
.LBB18_1017:
	s_mov_b64 s[20:21], 0
.LBB18_1018:
	s_andn2_b64 s[6:7], s[6:7], exec
	s_and_b64 s[0:1], s[0:1], exec
	s_and_b64 s[18:19], s[18:19], exec
	;; [unrolled: 1-line block ×3, first 2 shown]
	s_or_b64 s[6:7], s[6:7], s[0:1]
	s_or_b64 exec, exec, s[14:15]
	s_and_saveexec_b64 s[0:1], s[6:7]
	s_cbranch_execz .LBB18_957
.LBB18_1019:
	s_or_b64 s[16:17], s[16:17], exec
	s_andn2_b64 s[20:21], s[20:21], exec
	s_trap 2
	s_or_b64 exec, exec, s[0:1]
	s_and_saveexec_b64 s[0:1], s[20:21]
	s_xor_b64 s[0:1], exec, s[0:1]
	s_cbranch_execnz .LBB18_958
.LBB18_1020:
	s_or_b64 exec, exec, s[0:1]
	s_and_saveexec_b64 s[0:1], s[18:19]
	s_xor_b64 s[0:1], exec, s[0:1]
	s_cbranch_execz .LBB18_1058
.LBB18_1021:
	s_sext_i32_i16 s14, s26
	s_cmp_lt_i32 s14, 5
	s_mov_b64 s[6:7], -1
	s_cbranch_scc1 .LBB18_1042
; %bb.1022:
	s_cmp_lt_i32 s14, 8
	s_cbranch_scc1 .LBB18_1032
; %bb.1023:
	s_cmp_lt_i32 s14, 9
	s_cbranch_scc1 .LBB18_1029
; %bb.1024:
	s_cmp_gt_i32 s14, 9
	s_cbranch_scc0 .LBB18_1026
; %bb.1025:
	s_waitcnt vmcnt(0)
	v_cvt_f64_f32_e32 v[4:5], v0
	v_mov_b32_e32 v6, 0
	v_mov_b32_e32 v7, v6
	s_mov_b64 s[6:7], 0
	global_store_dwordx4 v[2:3], v[4:7], off
.LBB18_1026:
	s_andn2_b64 vcc, exec, s[6:7]
	s_cbranch_vccnz .LBB18_1028
; %bb.1027:
	v_mov_b32_e32 v1, 0
	s_waitcnt vmcnt(0)
	global_store_dwordx2 v[2:3], v[0:1], off
.LBB18_1028:
	s_mov_b64 s[6:7], 0
.LBB18_1029:
	s_andn2_b64 vcc, exec, s[6:7]
	s_cbranch_vccnz .LBB18_1031
; %bb.1030:
	v_cvt_f16_f32_e32 v1, v0
	s_waitcnt vmcnt(0)
	global_store_dword v[2:3], v1, off
.LBB18_1031:
	s_mov_b64 s[6:7], 0
.LBB18_1032:
	s_andn2_b64 vcc, exec, s[6:7]
	s_cbranch_vccnz .LBB18_1041
; %bb.1033:
	s_sext_i32_i16 s14, s26
	s_cmp_lt_i32 s14, 6
	s_mov_b64 s[6:7], -1
	s_cbranch_scc1 .LBB18_1039
; %bb.1034:
	s_cmp_gt_i32 s14, 6
	s_cbranch_scc0 .LBB18_1036
; %bb.1035:
	s_waitcnt vmcnt(0)
	v_cvt_f64_f32_e32 v[4:5], v0
	s_mov_b64 s[6:7], 0
	global_store_dwordx2 v[2:3], v[4:5], off
.LBB18_1036:
	s_andn2_b64 vcc, exec, s[6:7]
	s_cbranch_vccnz .LBB18_1038
; %bb.1037:
	s_waitcnt vmcnt(0)
	global_store_dword v[2:3], v0, off
.LBB18_1038:
	s_mov_b64 s[6:7], 0
.LBB18_1039:
	s_andn2_b64 vcc, exec, s[6:7]
	s_cbranch_vccnz .LBB18_1041
; %bb.1040:
	v_cvt_f16_f32_e32 v1, v0
	s_waitcnt vmcnt(0)
	global_store_short v[2:3], v1, off
.LBB18_1041:
	s_mov_b64 s[6:7], 0
.LBB18_1042:
	s_andn2_b64 vcc, exec, s[6:7]
	s_cbranch_vccnz .LBB18_1058
; %bb.1043:
	s_sext_i32_i16 s14, s26
	s_cmp_lt_i32 s14, 2
	s_mov_b64 s[6:7], -1
	s_cbranch_scc1 .LBB18_1053
; %bb.1044:
	s_cmp_lt_i32 s14, 3
	s_cbranch_scc1 .LBB18_1050
; %bb.1045:
	s_cmp_gt_i32 s14, 3
	s_cbranch_scc0 .LBB18_1047
; %bb.1046:
	v_trunc_f32_e32 v1, v0
	s_mov_b32 s6, 0x2f800000
	s_waitcnt vmcnt(0)
	v_mul_f32_e64 v4, |v1|, s6
	v_floor_f32_e32 v4, v4
	s_mov_b32 s6, 0xcf800000
	v_cvt_u32_f32_e32 v5, v4
	v_fma_f32 v4, v4, s6, |v1|
	v_cvt_u32_f32_e32 v4, v4
	v_ashrrev_i32_e32 v1, 31, v1
	v_xor_b32_e32 v5, v5, v1
	s_mov_b64 s[6:7], 0
	v_xor_b32_e32 v4, v4, v1
	v_sub_co_u32_e32 v4, vcc, v4, v1
	v_subb_co_u32_e32 v5, vcc, v5, v1, vcc
	global_store_dwordx2 v[2:3], v[4:5], off
.LBB18_1047:
	s_andn2_b64 vcc, exec, s[6:7]
	s_cbranch_vccnz .LBB18_1049
; %bb.1048:
	v_cvt_i32_f32_e32 v1, v0
	s_waitcnt vmcnt(0)
	global_store_dword v[2:3], v1, off
.LBB18_1049:
	s_mov_b64 s[6:7], 0
.LBB18_1050:
	s_andn2_b64 vcc, exec, s[6:7]
	s_cbranch_vccnz .LBB18_1052
; %bb.1051:
	v_cvt_i32_f32_e32 v1, v0
	s_waitcnt vmcnt(0)
	global_store_short v[2:3], v1, off
.LBB18_1052:
	s_mov_b64 s[6:7], 0
.LBB18_1053:
	s_andn2_b64 vcc, exec, s[6:7]
	s_cbranch_vccnz .LBB18_1058
; %bb.1054:
	s_sext_i32_i16 s6, s26
	s_cmp_gt_i32 s6, 0
	s_mov_b64 s[6:7], -1
	s_cbranch_scc0 .LBB18_1056
; %bb.1055:
	v_cvt_i32_f32_e32 v1, v0
	s_mov_b64 s[6:7], 0
	s_waitcnt vmcnt(0)
	global_store_byte v[2:3], v1, off
.LBB18_1056:
	s_andn2_b64 vcc, exec, s[6:7]
	s_cbranch_vccnz .LBB18_1058
; %bb.1057:
	v_trunc_f32_e32 v0, v0
	s_mov_b32 s6, 0x2f800000
	v_mul_f32_e64 v1, |v0|, s6
	v_floor_f32_e32 v1, v1
	s_mov_b32 s6, 0xcf800000
	v_fma_f32 v1, v1, s6, |v0|
	v_cvt_u32_f32_e32 v1, v1
	v_ashrrev_i32_e32 v0, 31, v0
	v_xor_b32_e32 v1, v1, v0
	v_sub_u32_e32 v0, v1, v0
	s_waitcnt vmcnt(0)
	global_store_byte v[2:3], v0, off
.LBB18_1058:
	s_or_b64 exec, exec, s[0:1]
	s_and_b64 s[6:7], s[16:17], exec
                                        ; implicit-def: $vgpr7
.LBB18_1059:
	s_or_saveexec_b64 s[4:5], s[4:5]
	s_mov_b64 s[0:1], 0
                                        ; implicit-def: $sgpr20
                                        ; implicit-def: $vgpr0_vgpr1
                                        ; implicit-def: $vgpr6
	s_xor_b64 exec, exec, s[4:5]
	s_cbranch_execz .LBB18_1685
; %bb.1060:
	s_waitcnt vmcnt(0)
	v_mul_lo_u32 v2, s3, v7
	v_mov_b32_e32 v1, s11
	s_and_b32 s22, 0xffff, s42
	s_cmp_lt_i32 s22, 11
	v_ashrrev_i32_e32 v3, 31, v2
	v_add_co_u32_e32 v0, vcc, s10, v2
	v_addc_co_u32_e32 v1, vcc, v1, v3, vcc
	s_cbranch_scc1 .LBB18_1067
; %bb.1061:
	s_cmp_gt_i32 s22, 25
	s_cbranch_scc0 .LBB18_1069
; %bb.1062:
	s_cmp_gt_i32 s22, 28
	s_cbranch_scc0 .LBB18_1070
	;; [unrolled: 3-line block ×4, first 2 shown]
; %bb.1065:
	s_cmp_eq_u32 s22, 46
	s_mov_b64 s[14:15], 0
	s_cbranch_scc0 .LBB18_1075
; %bb.1066:
	global_load_dword v3, v[0:1], off
	s_mov_b64 s[16:17], -1
	s_waitcnt vmcnt(0)
	v_lshlrev_b32_e32 v3, 16, v3
	s_branch .LBB18_1076
.LBB18_1067:
	s_mov_b64 s[16:17], 0
                                        ; implicit-def: $vgpr3
	s_mov_b64 s[14:15], s[6:7]
	s_cbranch_execnz .LBB18_1139
.LBB18_1068:
	s_andn2_b64 vcc, exec, s[16:17]
	s_cbranch_vccz .LBB18_1184
	s_branch .LBB18_1682
.LBB18_1069:
	s_mov_b64 s[16:17], 0
                                        ; implicit-def: $vgpr3
	s_cbranch_execnz .LBB18_1104
	s_branch .LBB18_1135
.LBB18_1070:
	s_mov_b64 s[14:15], -1
	s_mov_b64 s[16:17], 0
                                        ; implicit-def: $vgpr3
	s_branch .LBB18_1085
.LBB18_1071:
	s_mov_b64 s[16:17], 0
                                        ; implicit-def: $vgpr3
	s_cbranch_execnz .LBB18_1081
	s_branch .LBB18_1084
.LBB18_1072:
	s_mov_b64 s[14:15], -1
	s_mov_b64 s[16:17], 0
                                        ; implicit-def: $vgpr3
	s_branch .LBB18_1076
.LBB18_1073:
	s_andn2_saveexec_b64 s[22:23], s[22:23]
	s_cbranch_execz .LBB18_972
.LBB18_1074:
	s_mov_b32 s24, 0x46000000
	v_add_f32_e64 v1, |v0|, s24
	v_and_b32_e32 v1, 0xff, v1
	v_cmp_ne_u32_e32 vcc, 0, v1
	s_andn2_b64 s[20:21], s[20:21], exec
	s_and_b64 s[24:25], vcc, exec
	s_or_b64 s[20:21], s[20:21], s[24:25]
	s_or_b64 exec, exec, s[22:23]
	v_mov_b32_e32 v4, 0
	s_and_saveexec_b64 s[22:23], s[20:21]
	s_cbranch_execnz .LBB18_973
	s_branch .LBB18_974
.LBB18_1075:
	s_mov_b64 s[0:1], -1
                                        ; implicit-def: $vgpr3
	s_mov_b64 s[16:17], 0
.LBB18_1076:
	s_and_b64 vcc, exec, s[14:15]
	s_cbranch_vccz .LBB18_1079
; %bb.1077:
	s_cmp_eq_u32 s22, 44
	s_cbranch_scc0 .LBB18_1080
; %bb.1078:
	global_load_ubyte v3, v[0:1], off
	s_movk_i32 s14, 0xff
	v_mov_b32_e32 v4, 0x7f800001
	v_mov_b32_e32 v5, 0x400000
	s_mov_b64 s[0:1], 0
	s_mov_b64 s[16:17], -1
	s_waitcnt vmcnt(0)
	v_lshlrev_b32_e32 v6, 23, v3
	v_cmp_ne_u32_e32 vcc, s14, v3
	v_cndmask_b32_e32 v4, v4, v6, vcc
	v_cmp_ne_u32_e32 vcc, 0, v3
	v_cndmask_b32_e32 v3, v5, v4, vcc
.LBB18_1079:
	s_branch .LBB18_1084
.LBB18_1080:
	s_mov_b64 s[0:1], -1
                                        ; implicit-def: $vgpr3
	s_branch .LBB18_1084
.LBB18_1081:
	s_cmp_eq_u32 s22, 29
	s_cbranch_scc0 .LBB18_1083
; %bb.1082:
	global_load_dwordx2 v[3:4], v[0:1], off
	s_mov_b64 s[0:1], 0
	s_mov_b64 s[16:17], -1
	s_mov_b64 s[14:15], 0
	s_waitcnt vmcnt(0)
	v_ffbh_u32_e32 v5, v4
	v_min_u32_e32 v5, 32, v5
	v_lshlrev_b64 v[3:4], v5, v[3:4]
	v_min_u32_e32 v3, 1, v3
	v_or_b32_e32 v3, v4, v3
	v_cvt_f32_u32_e32 v3, v3
	v_sub_u32_e32 v4, 32, v5
	v_ldexp_f32 v3, v3, v4
	s_branch .LBB18_1085
.LBB18_1083:
	s_mov_b64 s[0:1], -1
                                        ; implicit-def: $vgpr3
.LBB18_1084:
	s_mov_b64 s[14:15], 0
.LBB18_1085:
	s_and_b64 vcc, exec, s[14:15]
	s_cbranch_vccz .LBB18_1103
; %bb.1086:
	s_cmp_lt_i32 s22, 27
	s_cbranch_scc1 .LBB18_1089
; %bb.1087:
	s_cmp_gt_i32 s22, 27
	s_cbranch_scc0 .LBB18_1090
; %bb.1088:
	global_load_dword v3, v[0:1], off
	s_mov_b64 s[14:15], 0
	s_waitcnt vmcnt(0)
	v_cvt_f32_u32_e32 v3, v3
	s_branch .LBB18_1091
.LBB18_1089:
	s_mov_b64 s[14:15], -1
                                        ; implicit-def: $vgpr3
	s_branch .LBB18_1094
.LBB18_1090:
	s_mov_b64 s[14:15], -1
                                        ; implicit-def: $vgpr3
.LBB18_1091:
	s_andn2_b64 vcc, exec, s[14:15]
	s_cbranch_vccnz .LBB18_1093
; %bb.1092:
	global_load_ushort v3, v[0:1], off
	s_waitcnt vmcnt(0)
	v_cvt_f32_u32_e32 v3, v3
.LBB18_1093:
	s_mov_b64 s[14:15], 0
.LBB18_1094:
	s_andn2_b64 vcc, exec, s[14:15]
	s_cbranch_vccnz .LBB18_1102
; %bb.1095:
	global_load_ubyte v4, v[0:1], off
	s_movk_i32 s14, 0x7f
	s_waitcnt vmcnt(0)
	v_cmp_lt_i16_e32 vcc, s14, v4
	s_mov_b64 s[14:15], 0
	s_and_saveexec_b64 s[16:17], vcc
	s_xor_b64 s[16:17], exec, s[16:17]
	s_cbranch_execz .LBB18_1115
; %bb.1096:
	s_movk_i32 s14, 0x80
	v_cmp_eq_u16_e32 vcc, s14, v4
	s_mov_b64 s[14:15], -1
	s_and_saveexec_b64 s[18:19], vcc
; %bb.1097:
	s_xor_b64 s[14:15], exec, -1
; %bb.1098:
	s_or_b64 exec, exec, s[18:19]
	s_and_b64 s[14:15], s[14:15], exec
	s_or_saveexec_b64 s[16:17], s[16:17]
	v_mov_b32_e32 v3, 0x7f800001
	s_xor_b64 exec, exec, s[16:17]
	s_cbranch_execnz .LBB18_1116
.LBB18_1099:
	s_or_b64 exec, exec, s[16:17]
	s_and_saveexec_b64 s[16:17], s[14:15]
	s_cbranch_execz .LBB18_1101
.LBB18_1100:
	v_lshlrev_b32_e32 v3, 24, v4
	v_and_b32_e32 v4, 0xffff, v4
	v_and_b32_e32 v5, 7, v4
	v_ffbh_u32_e32 v8, v5
	v_min_u32_e32 v8, 32, v8
	v_subrev_u32_e32 v9, 28, v8
	v_bfe_u32 v6, v4, 3, 4
	v_lshlrev_b32_e32 v4, v9, v4
	v_sub_u32_e32 v8, 29, v8
	v_and_b32_e32 v4, 7, v4
	v_cmp_eq_u32_e32 vcc, 0, v6
	v_cndmask_b32_e32 v6, v6, v8, vcc
	v_cndmask_b32_e32 v4, v5, v4, vcc
	v_mov_b32_e32 v5, 0x3b800000
	v_lshlrev_b32_e32 v4, 20, v4
	v_and_b32_e32 v3, 0x80000000, v3
	v_lshl_add_u32 v5, v6, 23, v5
	v_or3_b32 v3, v3, v5, v4
.LBB18_1101:
	s_or_b64 exec, exec, s[16:17]
.LBB18_1102:
	s_mov_b64 s[16:17], -1
.LBB18_1103:
	s_branch .LBB18_1135
.LBB18_1104:
	s_cmp_gt_i32 s22, 22
	s_cbranch_scc0 .LBB18_1114
; %bb.1105:
	s_cmp_lt_i32 s22, 24
	s_cbranch_scc1 .LBB18_1117
; %bb.1106:
	s_cmp_gt_i32 s22, 24
	s_cbranch_scc0 .LBB18_1118
; %bb.1107:
	global_load_ubyte v4, v[0:1], off
	s_movk_i32 s12, 0x7f
	s_waitcnt vmcnt(0)
	v_cmp_lt_i16_e32 vcc, s12, v4
	s_mov_b64 s[12:13], 0
	s_and_saveexec_b64 s[14:15], vcc
	s_xor_b64 s[14:15], exec, s[14:15]
	s_cbranch_execz .LBB18_1129
; %bb.1108:
	s_movk_i32 s12, 0x80
	v_cmp_eq_u16_e32 vcc, s12, v4
	s_mov_b64 s[12:13], -1
	s_and_saveexec_b64 s[16:17], vcc
; %bb.1109:
	s_xor_b64 s[12:13], exec, -1
; %bb.1110:
	s_or_b64 exec, exec, s[16:17]
	s_and_b64 s[12:13], s[12:13], exec
	s_or_saveexec_b64 s[14:15], s[14:15]
	v_mov_b32_e32 v3, 0x7f800001
	s_xor_b64 exec, exec, s[14:15]
	s_cbranch_execnz .LBB18_1130
.LBB18_1111:
	s_or_b64 exec, exec, s[14:15]
	s_and_saveexec_b64 s[14:15], s[12:13]
	s_cbranch_execz .LBB18_1113
.LBB18_1112:
	v_lshlrev_b32_e32 v3, 24, v4
	v_and_b32_e32 v4, 0xffff, v4
	v_and_b32_e32 v5, 3, v4
	v_ffbh_u32_e32 v8, v5
	v_min_u32_e32 v8, 32, v8
	v_subrev_u32_e32 v9, 29, v8
	v_bfe_u32 v6, v4, 2, 5
	v_lshlrev_b32_e32 v4, v9, v4
	v_sub_u32_e32 v8, 30, v8
	v_and_b32_e32 v4, 3, v4
	v_cmp_eq_u32_e32 vcc, 0, v6
	v_cndmask_b32_e32 v6, v6, v8, vcc
	v_cndmask_b32_e32 v4, v5, v4, vcc
	v_mov_b32_e32 v5, 0x37800000
	v_lshlrev_b32_e32 v4, 21, v4
	v_and_b32_e32 v3, 0x80000000, v3
	v_lshl_add_u32 v5, v6, 23, v5
	v_or3_b32 v3, v3, v5, v4
.LBB18_1113:
	s_or_b64 exec, exec, s[14:15]
	s_mov_b64 s[12:13], 0
	s_branch .LBB18_1119
.LBB18_1114:
                                        ; implicit-def: $vgpr3
	s_mov_b64 s[12:13], 0
	s_branch .LBB18_1125
.LBB18_1115:
	s_or_saveexec_b64 s[16:17], s[16:17]
	v_mov_b32_e32 v3, 0x7f800001
	s_xor_b64 exec, exec, s[16:17]
	s_cbranch_execz .LBB18_1099
.LBB18_1116:
	v_cmp_ne_u16_e32 vcc, 0, v4
	s_andn2_b64 s[14:15], s[14:15], exec
	s_and_b64 s[18:19], vcc, exec
	v_mov_b32_e32 v3, 0
	s_or_b64 s[14:15], s[14:15], s[18:19]
	s_or_b64 exec, exec, s[16:17]
	s_and_saveexec_b64 s[16:17], s[14:15]
	s_cbranch_execnz .LBB18_1100
	s_branch .LBB18_1101
.LBB18_1117:
	s_mov_b64 s[12:13], -1
                                        ; implicit-def: $vgpr3
	s_branch .LBB18_1122
.LBB18_1118:
	s_mov_b64 s[12:13], -1
                                        ; implicit-def: $vgpr3
.LBB18_1119:
	s_and_b64 vcc, exec, s[12:13]
	s_cbranch_vccz .LBB18_1121
; %bb.1120:
	global_load_ubyte v3, v[0:1], off
	s_mov_b32 s12, 0x7f800000
	s_waitcnt vmcnt(0)
	v_lshlrev_b32_e32 v3, 24, v3
	v_and_b32_e32 v4, 0x7f000000, v3
	v_ffbh_u32_e32 v5, v4
	v_min_u32_e32 v5, 32, v5
	v_sub_u32_e64 v5, v5, 4 clamp
	v_lshlrev_b32_e32 v8, v5, v4
	v_lshlrev_b32_e32 v5, 23, v5
	v_lshrrev_b32_e32 v8, 4, v8
	v_add_u32_e32 v6, 0x1000000, v4
	v_sub_u32_e32 v5, v8, v5
	v_ashrrev_i32_e32 v6, 8, v6
	v_add_u32_e32 v5, 0x3c000000, v5
	v_and_or_b32 v5, v6, s12, v5
	v_cmp_ne_u32_e32 vcc, 0, v4
	v_cndmask_b32_e32 v4, 0, v5, vcc
	s_brev_b32 s12, 1
	v_and_or_b32 v3, v3, s12, v4
.LBB18_1121:
	s_mov_b64 s[12:13], 0
.LBB18_1122:
	s_andn2_b64 vcc, exec, s[12:13]
	s_cbranch_vccnz .LBB18_1124
; %bb.1123:
	global_load_ubyte v3, v[0:1], off
	s_movk_i32 s12, 0x7f00
	s_brev_b32 s13, 16
	s_waitcnt vmcnt(0)
	v_lshlrev_b16_e32 v4, 8, v3
	v_lshlrev_b32_e32 v3, 25, v3
	v_lshrrev_b32_e32 v5, 4, v3
	v_and_or_b32 v6, v4, s12, 0.5
	v_or_b32_e32 v5, 0x70000000, v5
	v_add_f32_e32 v6, -0.5, v6
	v_mul_f32_e32 v5, 0x7800000, v5
	v_cmp_gt_u32_e32 vcc, s13, v3
	v_bfe_i32 v4, v4, 0, 16
	v_cndmask_b32_e32 v3, v5, v6, vcc
	s_brev_b32 s12, 1
	v_and_or_b32 v3, v4, s12, v3
.LBB18_1124:
	s_mov_b64 s[16:17], -1
	s_mov_b64 s[12:13], 0
	s_cbranch_execnz .LBB18_1135
.LBB18_1125:
	s_cmp_gt_i32 s22, 14
	s_cbranch_scc0 .LBB18_1128
; %bb.1126:
	s_cmp_eq_u32 s22, 15
	s_cbranch_scc0 .LBB18_1131
; %bb.1127:
	global_load_ushort v3, v[0:1], off
	s_mov_b64 s[0:1], 0
	s_mov_b64 s[16:17], -1
	s_waitcnt vmcnt(0)
	v_lshlrev_b32_e32 v3, 16, v3
	s_branch .LBB18_1132
.LBB18_1128:
	s_mov_b64 s[14:15], -1
                                        ; implicit-def: $vgpr3
	s_branch .LBB18_1133
.LBB18_1129:
	s_or_saveexec_b64 s[14:15], s[14:15]
	v_mov_b32_e32 v3, 0x7f800001
	s_xor_b64 exec, exec, s[14:15]
	s_cbranch_execz .LBB18_1111
.LBB18_1130:
	v_cmp_ne_u16_e32 vcc, 0, v4
	s_andn2_b64 s[12:13], s[12:13], exec
	s_and_b64 s[16:17], vcc, exec
	v_mov_b32_e32 v3, 0
	s_or_b64 s[12:13], s[12:13], s[16:17]
	s_or_b64 exec, exec, s[14:15]
	s_and_saveexec_b64 s[14:15], s[12:13]
	s_cbranch_execnz .LBB18_1112
	s_branch .LBB18_1113
.LBB18_1131:
	s_mov_b64 s[0:1], -1
                                        ; implicit-def: $vgpr3
.LBB18_1132:
	s_mov_b64 s[14:15], 0
.LBB18_1133:
	s_and_b64 vcc, exec, s[14:15]
	s_cbranch_vccz .LBB18_1135
; %bb.1134:
	s_cmp_lg_u32 s22, 11
	s_mov_b64 s[12:13], -1
	s_cselect_b64 s[0:1], -1, 0
.LBB18_1135:
	s_and_b64 vcc, exec, s[0:1]
	s_mov_b64 s[14:15], s[6:7]
	s_cbranch_vccnz .LBB18_1204
; %bb.1136:
	s_andn2_b64 vcc, exec, s[12:13]
	s_cbranch_vccnz .LBB18_1138
.LBB18_1137:
	global_load_ubyte v3, v[0:1], off
	s_mov_b64 s[16:17], -1
	s_waitcnt vmcnt(0)
	v_cmp_ne_u16_e32 vcc, 0, v3
	v_cndmask_b32_e64 v3, 0, 1.0, vcc
.LBB18_1138:
	s_branch .LBB18_1068
.LBB18_1139:
	s_cmp_lt_i32 s22, 5
	s_cbranch_scc1 .LBB18_1144
; %bb.1140:
	s_cmp_lt_i32 s22, 8
	s_cbranch_scc1 .LBB18_1145
; %bb.1141:
	;; [unrolled: 3-line block ×3, first 2 shown]
	s_cmp_gt_i32 s22, 9
	s_cbranch_scc0 .LBB18_1147
; %bb.1143:
	global_load_dwordx2 v[3:4], v[0:1], off
	s_mov_b64 s[0:1], 0
	s_waitcnt vmcnt(0)
	v_cvt_f32_f64_e32 v3, v[3:4]
	s_branch .LBB18_1148
.LBB18_1144:
                                        ; implicit-def: $vgpr3
	s_branch .LBB18_1165
.LBB18_1145:
                                        ; implicit-def: $vgpr3
	s_branch .LBB18_1154
.LBB18_1146:
	s_mov_b64 s[0:1], -1
                                        ; implicit-def: $vgpr3
	s_branch .LBB18_1151
.LBB18_1147:
	s_mov_b64 s[0:1], -1
                                        ; implicit-def: $vgpr3
.LBB18_1148:
	s_andn2_b64 vcc, exec, s[0:1]
	s_cbranch_vccnz .LBB18_1150
; %bb.1149:
	global_load_dword v3, v[0:1], off
.LBB18_1150:
	s_mov_b64 s[0:1], 0
.LBB18_1151:
	s_andn2_b64 vcc, exec, s[0:1]
	s_cbranch_vccnz .LBB18_1153
; %bb.1152:
	global_load_dword v3, v[0:1], off
	s_waitcnt vmcnt(0)
	v_cvt_f32_f16_e32 v3, v3
.LBB18_1153:
	s_cbranch_execnz .LBB18_1164
.LBB18_1154:
	s_cmp_lt_i32 s22, 6
	s_cbranch_scc1 .LBB18_1157
; %bb.1155:
	s_cmp_gt_i32 s22, 6
	s_cbranch_scc0 .LBB18_1158
; %bb.1156:
	global_load_dwordx2 v[3:4], v[0:1], off
	s_mov_b64 s[0:1], 0
	s_waitcnt vmcnt(0)
	v_cvt_f32_f64_e32 v3, v[3:4]
	s_branch .LBB18_1159
.LBB18_1157:
	s_mov_b64 s[0:1], -1
                                        ; implicit-def: $vgpr3
	s_branch .LBB18_1162
.LBB18_1158:
	s_mov_b64 s[0:1], -1
                                        ; implicit-def: $vgpr3
.LBB18_1159:
	s_andn2_b64 vcc, exec, s[0:1]
	s_cbranch_vccnz .LBB18_1161
; %bb.1160:
	global_load_dword v3, v[0:1], off
.LBB18_1161:
	s_mov_b64 s[0:1], 0
.LBB18_1162:
	s_andn2_b64 vcc, exec, s[0:1]
	s_cbranch_vccnz .LBB18_1164
; %bb.1163:
	global_load_ushort v3, v[0:1], off
	s_waitcnt vmcnt(0)
	v_cvt_f32_f16_e32 v3, v3
.LBB18_1164:
	s_cbranch_execnz .LBB18_1183
.LBB18_1165:
	s_cmp_lt_i32 s22, 2
	s_cbranch_scc1 .LBB18_1169
; %bb.1166:
	s_cmp_lt_i32 s22, 3
	s_cbranch_scc1 .LBB18_1170
; %bb.1167:
	s_cmp_gt_i32 s22, 3
	s_cbranch_scc0 .LBB18_1171
; %bb.1168:
	global_load_dwordx2 v[3:4], v[0:1], off
	s_mov_b64 s[0:1], 0
	s_waitcnt vmcnt(0)
	v_xor_b32_e32 v6, v3, v4
	v_ffbh_i32_e32 v5, v4
	v_ashrrev_i32_e32 v6, 31, v6
	v_add_u32_e32 v5, -1, v5
	v_add_u32_e32 v6, 32, v6
	v_min_u32_e32 v5, v5, v6
	v_lshlrev_b64 v[3:4], v5, v[3:4]
	v_min_u32_e32 v3, 1, v3
	v_or_b32_e32 v3, v4, v3
	v_cvt_f32_i32_e32 v3, v3
	v_sub_u32_e32 v4, 32, v5
	v_ldexp_f32 v3, v3, v4
	s_branch .LBB18_1172
.LBB18_1169:
                                        ; implicit-def: $vgpr3
	s_branch .LBB18_1178
.LBB18_1170:
	s_mov_b64 s[0:1], -1
                                        ; implicit-def: $vgpr3
	s_branch .LBB18_1175
.LBB18_1171:
	s_mov_b64 s[0:1], -1
                                        ; implicit-def: $vgpr3
.LBB18_1172:
	s_andn2_b64 vcc, exec, s[0:1]
	s_cbranch_vccnz .LBB18_1174
; %bb.1173:
	global_load_dword v3, v[0:1], off
	s_waitcnt vmcnt(0)
	v_cvt_f32_i32_e32 v3, v3
.LBB18_1174:
	s_mov_b64 s[0:1], 0
.LBB18_1175:
	s_andn2_b64 vcc, exec, s[0:1]
	s_cbranch_vccnz .LBB18_1177
; %bb.1176:
	global_load_sshort v3, v[0:1], off
	s_waitcnt vmcnt(0)
	v_cvt_f32_i32_e32 v3, v3
.LBB18_1177:
	s_cbranch_execnz .LBB18_1183
.LBB18_1178:
	s_cmp_gt_i32 s22, 0
	s_cbranch_scc0 .LBB18_1180
; %bb.1179:
	global_load_sbyte v3, v[0:1], off
	s_mov_b64 s[0:1], 0
	s_waitcnt vmcnt(0)
	v_cvt_f32_i32_e32 v3, v3
	s_branch .LBB18_1181
.LBB18_1180:
	s_mov_b64 s[0:1], -1
                                        ; implicit-def: $vgpr3
.LBB18_1181:
	s_andn2_b64 vcc, exec, s[0:1]
	s_cbranch_vccnz .LBB18_1183
; %bb.1182:
	global_load_ubyte v0, v[0:1], off
	s_waitcnt vmcnt(0)
	v_cvt_f32_ubyte0_e32 v3, v0
.LBB18_1183:
.LBB18_1184:
	s_waitcnt vmcnt(0)
	v_cmp_neq_f32_e32 vcc, 0, v3
	v_mov_b32_e32 v0, 0x7f800000
	s_and_saveexec_b64 s[12:13], vcc
	s_cbranch_execz .LBB18_1192
; %bb.1185:
	v_cmp_ngt_f32_e32 vcc, 0, v3
	v_mov_b32_e32 v0, 0x7fc00000
	s_and_saveexec_b64 s[16:17], vcc
	s_cbranch_execz .LBB18_1191
; %bb.1186:
	v_cmp_ge_f32_e32 vcc, 2.0, v3
                                        ; implicit-def: $vgpr0
	s_and_saveexec_b64 s[0:1], vcc
	s_xor_b64 s[18:19], exec, s[0:1]
	s_cbranch_execz .LBB18_1188
; %bb.1187:
	v_fma_f32 v0, v3, v3, -2.0
	v_mov_b32_e32 v1, 0x293fd856
	v_fmac_f32_e32 v1, 0x251e770f, v0
	v_mov_b32_e32 v4, 0xa51e770f
	v_fmac_f32_e32 v4, v0, v1
	v_add_f32_e32 v4, 0x2d3612e2, v4
	v_fma_f32 v1, v0, v4, -v1
	v_add_f32_e32 v1, 0x3102e09b, v1
	v_fma_f32 v4, v0, v1, -v4
	;; [unrolled: 2-line block ×7, first 2 shown]
	v_mul_f32_e32 v4, 0.5, v3
	s_mov_b32 s0, 0x800000
	v_cmp_gt_f32_e32 vcc, s0, v4
	v_cndmask_b32_e64 v5, 0, 32, vcc
	v_ldexp_f32 v4, v4, v5
	v_log_f32_e32 v4, v4
	v_add_f32_e32 v0, 0xbf090b37, v0
	v_sub_f32_e32 v0, v0, v1
	s_mov_b32 s0, 0x3f317217
	v_mul_f32_e32 v1, 0x3f317217, v4
	v_fma_f32 v1, v4, s0, -v1
	v_fmac_f32_e32 v1, 0x3377d1cf, v4
	s_mov_b32 s0, 0x7f800000
	v_fmac_f32_e32 v1, 0x3f317217, v4
	v_cmp_lt_f32_e64 s[0:1], |v4|, s0
	v_cndmask_b32_e64 v1, v4, v1, s[0:1]
	v_mul_f32_e32 v4, 0x3fb8aa3b, v3
	s_mov_b32 s0, 0x3fb8aa3b
	v_rndne_f32_e32 v5, v4
	v_sub_f32_e32 v6, v4, v5
	v_fma_f32 v4, v3, s0, -v4
	v_fmac_f32_e32 v4, 0x32a5705f, v3
	v_add_f32_e32 v4, v6, v4
	v_exp_f32_e32 v4, v4
	v_cvt_i32_f32_e32 v5, v5
	v_mov_b32_e32 v6, 0x41b17218
	s_mov_b32 s0, 0xc2ce8ed0
	v_cndmask_b32_e32 v6, 0, v6, vcc
	v_ldexp_f32 v4, v4, v5
	v_cmp_ngt_f32_e32 vcc, s0, v3
	s_mov_b32 s0, 0x42b17218
	v_cndmask_b32_e32 v4, 0, v4, vcc
	v_mov_b32_e32 v5, 0x7f800000
	v_cmp_nlt_f32_e32 vcc, s0, v3
	v_cndmask_b32_e32 v4, v5, v4, vcc
	v_fma_f32 v3, v3, 0.5, -2.0
	v_mov_b32_e32 v5, 0x24199b15
	v_sub_f32_e32 v1, v1, v6
	v_fmac_f32_e32 v5, 0xa2a2e5b9, v3
	v_mov_b32_e32 v6, 0x22a2e5b9
	v_fmac_f32_e32 v6, v3, v5
	v_add_f32_e32 v6, 0xa58c275c, v6
	v_fma_f32 v5, v3, v6, -v5
	v_add_f32_e32 v5, 0x26f736c5, v5
	v_fma_f32 v6, v3, v5, -v6
	;; [unrolled: 2-line block ×27, first 2 shown]
	v_add_f32_e32 v3, 0x3f2d4275, v3
	v_sub_f32_e32 v3, v3, v5
	v_mul_f32_e32 v3, 0.5, v3
	v_mul_f32_e32 v3, v4, v3
	v_mul_f32_e32 v1, v1, v3
	v_fma_f32 v0, v0, 0.5, -v1
	v_mul_f32_e32 v0, v4, v0
                                        ; implicit-def: $vgpr3
.LBB18_1188:
	s_andn2_saveexec_b64 s[18:19], s[18:19]
	s_cbranch_execz .LBB18_1190
; %bb.1189:
	s_mov_b32 s20, 0x41000000
	v_div_scale_f32 v0, s[0:1], v3, v3, s20
	v_div_scale_f32 v1, vcc, s20, v3, s20
	s_mov_b32 s0, 0xf800000
	v_mul_f32_e32 v4, 0x4f800000, v3
	v_cmp_gt_f32_e64 s[0:1], s0, v3
	v_cndmask_b32_e64 v4, v3, v4, s[0:1]
	v_sqrt_f32_e32 v6, v4
	v_add_u32_e32 v10, 1, v6
	v_fma_f32 v12, -v10, v6, v4
	v_rcp_f32_e32 v5, v0
	v_fma_f32 v8, -v0, v5, 1.0
	v_fmac_f32_e32 v5, v8, v5
	v_mul_f32_e32 v8, v1, v5
	v_fma_f32 v9, -v0, v8, v1
	v_fmac_f32_e32 v8, v9, v5
	v_fma_f32 v0, -v0, v8, v1
	v_div_fmas_f32 v0, v0, v5, v8
	v_mov_b32_e32 v1, 0xa397f665
	v_mov_b32_e32 v5, 0xa2c38d2e
	v_add_u32_e32 v9, -1, v6
	v_fma_f32 v11, -v9, v6, v4
	v_cmp_ge_f32_e32 vcc, 0, v11
	v_cndmask_b32_e32 v6, v6, v9, vcc
	v_cmp_lt_f32_e32 vcc, 0, v12
	v_cndmask_b32_e32 v6, v6, v10, vcc
	v_mov_b32_e32 v8, 0x260
	v_mul_f32_e32 v9, 0x37800000, v6
	v_cndmask_b32_e64 v6, v6, v9, s[0:1]
	v_cmp_class_f32_e32 vcc, v4, v8
	v_cndmask_b32_e32 v4, v6, v4, vcc
	v_div_fixup_f32 v0, v0, v3, s20
	v_add_f32_e32 v0, -2.0, v0
	v_fmac_f32_e32 v1, 0x22c38d2e, v0
	v_fmac_f32_e32 v5, v0, v1
	v_add_f32_e32 v3, 0x24704972, v5
	v_fma_f32 v1, v0, v3, -v1
	v_add_f32_e32 v1, 0xa5417ca4, v1
	v_fma_f32 v3, v0, v1, -v3
	;; [unrolled: 2-line block ×22, first 2 shown]
	v_add_f32_e32 v0, 0x401c2ded, v0
	v_sub_f32_e32 v0, v0, v3
	v_mul_f32_e32 v0, 0.5, v0
	v_div_scale_f32 v1, s[0:1], v4, v4, v0
	v_div_scale_f32 v3, vcc, v0, v4, v0
	v_rcp_f32_e32 v5, v1
	v_fma_f32 v6, -v1, v5, 1.0
	v_fmac_f32_e32 v5, v6, v5
	v_mul_f32_e32 v6, v3, v5
	v_fma_f32 v8, -v1, v6, v3
	v_fmac_f32_e32 v6, v8, v5
	v_fma_f32 v1, -v1, v6, v3
	v_div_fmas_f32 v1, v1, v5, v6
	v_div_fixup_f32 v0, v1, v4, v0
.LBB18_1190:
	s_or_b64 exec, exec, s[18:19]
.LBB18_1191:
	s_or_b64 exec, exec, s[16:17]
.LBB18_1192:
	s_or_b64 exec, exec, s[12:13]
	s_lshl_b32 s3, s3, 7
	v_add_u32_e32 v3, s3, v2
	v_ashrrev_i32_e32 v2, 31, v3
	v_mov_b32_e32 v4, s11
	v_add_co_u32_e32 v1, vcc, s10, v3
	s_cmp_lt_i32 s22, 11
	v_addc_co_u32_e32 v2, vcc, v4, v2, vcc
	s_cbranch_scc1 .LBB18_1199
; %bb.1193:
	s_cmp_gt_i32 s22, 25
	s_mov_b64 s[12:13], 0
	s_cbranch_scc0 .LBB18_1201
; %bb.1194:
	s_cmp_gt_i32 s22, 28
	s_cbranch_scc0 .LBB18_1202
; %bb.1195:
	s_cmp_gt_i32 s22, 43
	;; [unrolled: 3-line block ×3, first 2 shown]
	s_cbranch_scc0 .LBB18_1205
; %bb.1197:
	s_cmp_eq_u32 s22, 46
	s_mov_b64 s[18:19], 0
	s_cbranch_scc0 .LBB18_1208
; %bb.1198:
	global_load_dword v4, v[1:2], off
	s_mov_b64 s[0:1], 0
	s_mov_b64 s[16:17], -1
	s_waitcnt vmcnt(0)
	v_lshlrev_b32_e32 v4, 16, v4
	s_branch .LBB18_1209
.LBB18_1199:
	s_mov_b64 s[16:17], 0
                                        ; implicit-def: $vgpr4
	s_cbranch_execnz .LBB18_1274
.LBB18_1200:
	s_andn2_b64 vcc, exec, s[16:17]
	s_cbranch_vccnz .LBB18_1682
	s_branch .LBB18_1321
.LBB18_1201:
	s_mov_b64 s[16:17], 0
	s_mov_b64 s[0:1], 0
                                        ; implicit-def: $vgpr4
	s_cbranch_execnz .LBB18_1238
	s_branch .LBB18_1270
.LBB18_1202:
	s_mov_b64 s[18:19], -1
	s_mov_b64 s[16:17], 0
	s_mov_b64 s[0:1], 0
                                        ; implicit-def: $vgpr4
	s_branch .LBB18_1219
.LBB18_1203:
	s_mov_b64 s[18:19], -1
	s_mov_b64 s[16:17], 0
	s_mov_b64 s[0:1], 0
                                        ; implicit-def: $vgpr4
	s_branch .LBB18_1214
.LBB18_1204:
	s_or_b64 s[14:15], s[6:7], exec
	s_trap 2
	s_cbranch_execz .LBB18_1137
	s_branch .LBB18_1138
.LBB18_1205:
	s_mov_b64 s[18:19], -1
	s_mov_b64 s[16:17], 0
	s_mov_b64 s[0:1], 0
                                        ; implicit-def: $vgpr4
	s_branch .LBB18_1209
.LBB18_1206:
	s_andn2_saveexec_b64 s[24:25], s[24:25]
	s_cbranch_execz .LBB18_984
.LBB18_1207:
	s_mov_b32 s28, 0x42800000
	v_add_f32_e64 v1, |v0|, s28
	v_and_b32_e32 v1, 0xff, v1
	v_cmp_ne_u32_e32 vcc, 0, v1
	s_andn2_b64 s[22:23], s[22:23], exec
	s_and_b64 s[28:29], vcc, exec
	s_or_b64 s[22:23], s[22:23], s[28:29]
	s_or_b64 exec, exec, s[24:25]
	v_mov_b32_e32 v4, 0
	s_and_saveexec_b64 s[24:25], s[22:23]
	s_cbranch_execnz .LBB18_985
	s_branch .LBB18_986
.LBB18_1208:
	s_mov_b64 s[0:1], -1
                                        ; implicit-def: $vgpr4
	s_mov_b64 s[16:17], 0
.LBB18_1209:
	s_and_b64 vcc, exec, s[18:19]
	s_cbranch_vccz .LBB18_1213
; %bb.1210:
	s_cmp_eq_u32 s22, 44
	s_cbranch_scc0 .LBB18_1212
; %bb.1211:
	global_load_ubyte v4, v[1:2], off
	s_movk_i32 s16, 0xff
	v_mov_b32_e32 v5, 0x7f800001
	v_mov_b32_e32 v6, 0x400000
	s_mov_b64 s[0:1], 0
	s_waitcnt vmcnt(0)
	v_lshlrev_b32_e32 v8, 23, v4
	v_cmp_ne_u32_e32 vcc, s16, v4
	v_cndmask_b32_e32 v5, v5, v8, vcc
	v_cmp_ne_u32_e32 vcc, 0, v4
	v_cndmask_b32_e32 v4, v6, v5, vcc
	s_mov_b64 s[16:17], -1
	s_branch .LBB18_1213
.LBB18_1212:
	s_mov_b64 s[0:1], -1
                                        ; implicit-def: $vgpr4
.LBB18_1213:
	s_mov_b64 s[18:19], 0
.LBB18_1214:
	s_and_b64 vcc, exec, s[18:19]
	s_cbranch_vccz .LBB18_1218
; %bb.1215:
	s_cmp_eq_u32 s22, 29
	s_cbranch_scc0 .LBB18_1217
; %bb.1216:
	global_load_dwordx2 v[4:5], v[1:2], off
	s_mov_b64 s[0:1], 0
	s_mov_b64 s[16:17], -1
	s_mov_b64 s[18:19], 0
	s_waitcnt vmcnt(0)
	v_ffbh_u32_e32 v6, v5
	v_min_u32_e32 v6, 32, v6
	v_lshlrev_b64 v[4:5], v6, v[4:5]
	v_min_u32_e32 v4, 1, v4
	v_or_b32_e32 v4, v5, v4
	v_cvt_f32_u32_e32 v4, v4
	v_sub_u32_e32 v5, 32, v6
	v_ldexp_f32 v4, v4, v5
	s_branch .LBB18_1219
.LBB18_1217:
	s_mov_b64 s[0:1], -1
                                        ; implicit-def: $vgpr4
.LBB18_1218:
	s_mov_b64 s[18:19], 0
.LBB18_1219:
	s_and_b64 vcc, exec, s[18:19]
	s_cbranch_vccz .LBB18_1237
; %bb.1220:
	s_cmp_lt_i32 s22, 27
	s_cbranch_scc1 .LBB18_1223
; %bb.1221:
	s_cmp_gt_i32 s22, 27
	s_cbranch_scc0 .LBB18_1224
; %bb.1222:
	global_load_dword v4, v[1:2], off
	s_mov_b64 s[16:17], 0
	s_waitcnt vmcnt(0)
	v_cvt_f32_u32_e32 v4, v4
	s_branch .LBB18_1225
.LBB18_1223:
	s_mov_b64 s[16:17], -1
                                        ; implicit-def: $vgpr4
	s_branch .LBB18_1228
.LBB18_1224:
	s_mov_b64 s[16:17], -1
                                        ; implicit-def: $vgpr4
.LBB18_1225:
	s_andn2_b64 vcc, exec, s[16:17]
	s_cbranch_vccnz .LBB18_1227
; %bb.1226:
	global_load_ushort v4, v[1:2], off
	s_waitcnt vmcnt(0)
	v_cvt_f32_u32_e32 v4, v4
.LBB18_1227:
	s_mov_b64 s[16:17], 0
.LBB18_1228:
	s_andn2_b64 vcc, exec, s[16:17]
	s_cbranch_vccnz .LBB18_1236
; %bb.1229:
	global_load_ubyte v5, v[1:2], off
	s_movk_i32 s16, 0x7f
	s_waitcnt vmcnt(0)
	v_cmp_lt_i16_e32 vcc, s16, v5
	s_mov_b64 s[16:17], 0
	s_and_saveexec_b64 s[18:19], vcc
	s_xor_b64 s[18:19], exec, s[18:19]
	s_cbranch_execz .LBB18_1249
; %bb.1230:
	s_movk_i32 s16, 0x80
	v_cmp_eq_u16_e32 vcc, s16, v5
	s_mov_b64 s[16:17], -1
	s_and_saveexec_b64 s[20:21], vcc
; %bb.1231:
	s_xor_b64 s[16:17], exec, -1
; %bb.1232:
	s_or_b64 exec, exec, s[20:21]
	s_and_b64 s[16:17], s[16:17], exec
	s_or_saveexec_b64 s[18:19], s[18:19]
	v_mov_b32_e32 v4, 0x7f800001
	s_xor_b64 exec, exec, s[18:19]
	s_cbranch_execnz .LBB18_1250
.LBB18_1233:
	s_or_b64 exec, exec, s[18:19]
	s_and_saveexec_b64 s[18:19], s[16:17]
	s_cbranch_execz .LBB18_1235
.LBB18_1234:
	v_lshlrev_b32_e32 v4, 24, v5
	v_and_b32_e32 v5, 0xffff, v5
	v_and_b32_e32 v6, 7, v5
	v_ffbh_u32_e32 v9, v6
	v_min_u32_e32 v9, 32, v9
	v_subrev_u32_e32 v10, 28, v9
	v_bfe_u32 v8, v5, 3, 4
	v_lshlrev_b32_e32 v5, v10, v5
	v_sub_u32_e32 v9, 29, v9
	v_and_b32_e32 v5, 7, v5
	v_cmp_eq_u32_e32 vcc, 0, v8
	v_cndmask_b32_e32 v8, v8, v9, vcc
	v_cndmask_b32_e32 v5, v6, v5, vcc
	v_mov_b32_e32 v6, 0x3b800000
	v_lshlrev_b32_e32 v5, 20, v5
	v_and_b32_e32 v4, 0x80000000, v4
	v_lshl_add_u32 v6, v8, 23, v6
	v_or3_b32 v4, v4, v6, v5
.LBB18_1235:
	s_or_b64 exec, exec, s[18:19]
.LBB18_1236:
	s_mov_b64 s[16:17], -1
.LBB18_1237:
	s_branch .LBB18_1270
.LBB18_1238:
	s_cmp_gt_i32 s22, 22
	s_cbranch_scc0 .LBB18_1248
; %bb.1239:
	s_cmp_lt_i32 s22, 24
	s_cbranch_scc1 .LBB18_1251
; %bb.1240:
	s_cmp_gt_i32 s22, 24
	s_cbranch_scc0 .LBB18_1252
; %bb.1241:
	global_load_ubyte v5, v[1:2], off
	s_movk_i32 s12, 0x7f
	s_waitcnt vmcnt(0)
	v_cmp_lt_i16_e32 vcc, s12, v5
	s_mov_b64 s[12:13], 0
	s_and_saveexec_b64 s[16:17], vcc
	s_xor_b64 s[16:17], exec, s[16:17]
	s_cbranch_execz .LBB18_1264
; %bb.1242:
	s_movk_i32 s12, 0x80
	v_cmp_eq_u16_e32 vcc, s12, v5
	s_mov_b64 s[12:13], -1
	s_and_saveexec_b64 s[18:19], vcc
; %bb.1243:
	s_xor_b64 s[12:13], exec, -1
; %bb.1244:
	s_or_b64 exec, exec, s[18:19]
	s_and_b64 s[12:13], s[12:13], exec
	s_or_saveexec_b64 s[16:17], s[16:17]
	v_mov_b32_e32 v4, 0x7f800001
	s_xor_b64 exec, exec, s[16:17]
	s_cbranch_execnz .LBB18_1265
.LBB18_1245:
	s_or_b64 exec, exec, s[16:17]
	s_and_saveexec_b64 s[16:17], s[12:13]
	s_cbranch_execz .LBB18_1247
.LBB18_1246:
	v_lshlrev_b32_e32 v4, 24, v5
	v_and_b32_e32 v5, 0xffff, v5
	v_and_b32_e32 v6, 3, v5
	v_ffbh_u32_e32 v9, v6
	v_min_u32_e32 v9, 32, v9
	v_subrev_u32_e32 v10, 29, v9
	v_bfe_u32 v8, v5, 2, 5
	v_lshlrev_b32_e32 v5, v10, v5
	v_sub_u32_e32 v9, 30, v9
	v_and_b32_e32 v5, 3, v5
	v_cmp_eq_u32_e32 vcc, 0, v8
	v_cndmask_b32_e32 v8, v8, v9, vcc
	v_cndmask_b32_e32 v5, v6, v5, vcc
	v_mov_b32_e32 v6, 0x37800000
	v_lshlrev_b32_e32 v5, 21, v5
	v_and_b32_e32 v4, 0x80000000, v4
	v_lshl_add_u32 v6, v8, 23, v6
	v_or3_b32 v4, v4, v6, v5
.LBB18_1247:
	s_or_b64 exec, exec, s[16:17]
	s_mov_b64 s[12:13], 0
	s_branch .LBB18_1253
.LBB18_1248:
	s_mov_b64 s[12:13], -1
                                        ; implicit-def: $vgpr4
	s_branch .LBB18_1259
.LBB18_1249:
	s_or_saveexec_b64 s[18:19], s[18:19]
	v_mov_b32_e32 v4, 0x7f800001
	s_xor_b64 exec, exec, s[18:19]
	s_cbranch_execz .LBB18_1233
.LBB18_1250:
	v_cmp_ne_u16_e32 vcc, 0, v5
	s_andn2_b64 s[16:17], s[16:17], exec
	s_and_b64 s[20:21], vcc, exec
	v_mov_b32_e32 v4, 0
	s_or_b64 s[16:17], s[16:17], s[20:21]
	s_or_b64 exec, exec, s[18:19]
	s_and_saveexec_b64 s[18:19], s[16:17]
	s_cbranch_execnz .LBB18_1234
	s_branch .LBB18_1235
.LBB18_1251:
	s_mov_b64 s[12:13], -1
                                        ; implicit-def: $vgpr4
	s_branch .LBB18_1256
.LBB18_1252:
	s_mov_b64 s[12:13], -1
                                        ; implicit-def: $vgpr4
.LBB18_1253:
	s_and_b64 vcc, exec, s[12:13]
	s_cbranch_vccz .LBB18_1255
; %bb.1254:
	global_load_ubyte v4, v[1:2], off
	s_mov_b32 s12, 0x7f800000
	s_waitcnt vmcnt(0)
	v_lshlrev_b32_e32 v4, 24, v4
	v_and_b32_e32 v5, 0x7f000000, v4
	v_ffbh_u32_e32 v6, v5
	v_min_u32_e32 v6, 32, v6
	v_sub_u32_e64 v6, v6, 4 clamp
	v_lshlrev_b32_e32 v9, v6, v5
	v_lshlrev_b32_e32 v6, 23, v6
	v_lshrrev_b32_e32 v9, 4, v9
	v_add_u32_e32 v8, 0x1000000, v5
	v_sub_u32_e32 v6, v9, v6
	v_ashrrev_i32_e32 v8, 8, v8
	v_add_u32_e32 v6, 0x3c000000, v6
	v_and_or_b32 v6, v8, s12, v6
	v_cmp_ne_u32_e32 vcc, 0, v5
	v_cndmask_b32_e32 v5, 0, v6, vcc
	s_brev_b32 s12, 1
	v_and_or_b32 v4, v4, s12, v5
.LBB18_1255:
	s_mov_b64 s[12:13], 0
.LBB18_1256:
	s_andn2_b64 vcc, exec, s[12:13]
	s_cbranch_vccnz .LBB18_1258
; %bb.1257:
	global_load_ubyte v4, v[1:2], off
	s_movk_i32 s12, 0x7f00
	s_brev_b32 s13, 16
	s_waitcnt vmcnt(0)
	v_lshlrev_b16_e32 v5, 8, v4
	v_lshlrev_b32_e32 v4, 25, v4
	v_lshrrev_b32_e32 v6, 4, v4
	v_and_or_b32 v8, v5, s12, 0.5
	v_or_b32_e32 v6, 0x70000000, v6
	v_add_f32_e32 v8, -0.5, v8
	v_mul_f32_e32 v6, 0x7800000, v6
	v_cmp_gt_u32_e32 vcc, s13, v4
	v_bfe_i32 v5, v5, 0, 16
	v_cndmask_b32_e32 v4, v6, v8, vcc
	s_brev_b32 s12, 1
	v_and_or_b32 v4, v5, s12, v4
.LBB18_1258:
	s_mov_b64 s[12:13], 0
	s_mov_b64 s[16:17], -1
.LBB18_1259:
	s_andn2_b64 vcc, exec, s[12:13]
	s_mov_b64 s[12:13], 0
	s_cbranch_vccnz .LBB18_1270
; %bb.1260:
	s_cmp_gt_i32 s22, 14
	s_cbranch_scc0 .LBB18_1263
; %bb.1261:
	s_cmp_eq_u32 s22, 15
	s_cbranch_scc0 .LBB18_1266
; %bb.1262:
	global_load_ushort v4, v[1:2], off
	s_mov_b64 s[0:1], 0
	s_mov_b64 s[16:17], -1
	s_waitcnt vmcnt(0)
	v_lshlrev_b32_e32 v4, 16, v4
	s_branch .LBB18_1267
.LBB18_1263:
	s_mov_b64 s[18:19], -1
                                        ; implicit-def: $vgpr4
	s_branch .LBB18_1268
.LBB18_1264:
	s_or_saveexec_b64 s[16:17], s[16:17]
	v_mov_b32_e32 v4, 0x7f800001
	s_xor_b64 exec, exec, s[16:17]
	s_cbranch_execz .LBB18_1245
.LBB18_1265:
	v_cmp_ne_u16_e32 vcc, 0, v5
	s_andn2_b64 s[12:13], s[12:13], exec
	s_and_b64 s[18:19], vcc, exec
	v_mov_b32_e32 v4, 0
	s_or_b64 s[12:13], s[12:13], s[18:19]
	s_or_b64 exec, exec, s[16:17]
	s_and_saveexec_b64 s[16:17], s[12:13]
	s_cbranch_execnz .LBB18_1246
	s_branch .LBB18_1247
.LBB18_1266:
	s_mov_b64 s[0:1], -1
                                        ; implicit-def: $vgpr4
.LBB18_1267:
	s_mov_b64 s[18:19], 0
.LBB18_1268:
	s_and_b64 vcc, exec, s[18:19]
	s_cbranch_vccz .LBB18_1270
; %bb.1269:
	s_cmp_lg_u32 s22, 11
	s_mov_b64 s[12:13], -1
	s_cselect_b64 s[0:1], -1, 0
.LBB18_1270:
	s_and_b64 vcc, exec, s[0:1]
	s_cbranch_vccnz .LBB18_1341
; %bb.1271:
	s_andn2_b64 vcc, exec, s[12:13]
	s_cbranch_vccnz .LBB18_1273
.LBB18_1272:
	global_load_ubyte v4, v[1:2], off
	s_mov_b64 s[16:17], -1
	s_waitcnt vmcnt(0)
	v_cmp_ne_u16_e32 vcc, 0, v4
	v_cndmask_b32_e64 v4, 0, 1.0, vcc
.LBB18_1273:
	s_branch .LBB18_1200
.LBB18_1274:
	s_cmp_lt_i32 s22, 5
	s_cbranch_scc1 .LBB18_1279
; %bb.1275:
	s_cmp_lt_i32 s22, 8
	s_cbranch_scc1 .LBB18_1280
; %bb.1276:
	;; [unrolled: 3-line block ×3, first 2 shown]
	s_cmp_gt_i32 s22, 9
	s_cbranch_scc0 .LBB18_1282
; %bb.1278:
	global_load_dwordx2 v[4:5], v[1:2], off
	s_mov_b64 s[0:1], 0
	s_waitcnt vmcnt(0)
	v_cvt_f32_f64_e32 v4, v[4:5]
	s_branch .LBB18_1283
.LBB18_1279:
                                        ; implicit-def: $vgpr4
	s_branch .LBB18_1301
.LBB18_1280:
	s_mov_b64 s[0:1], -1
                                        ; implicit-def: $vgpr4
	s_branch .LBB18_1289
.LBB18_1281:
	s_mov_b64 s[0:1], -1
                                        ; implicit-def: $vgpr4
	s_branch .LBB18_1286
.LBB18_1282:
	s_mov_b64 s[0:1], -1
                                        ; implicit-def: $vgpr4
.LBB18_1283:
	s_andn2_b64 vcc, exec, s[0:1]
	s_cbranch_vccnz .LBB18_1285
; %bb.1284:
	global_load_dword v4, v[1:2], off
.LBB18_1285:
	s_mov_b64 s[0:1], 0
.LBB18_1286:
	s_andn2_b64 vcc, exec, s[0:1]
	s_cbranch_vccnz .LBB18_1288
; %bb.1287:
	global_load_dword v4, v[1:2], off
	s_waitcnt vmcnt(0)
	v_cvt_f32_f16_e32 v4, v4
.LBB18_1288:
	s_mov_b64 s[0:1], 0
.LBB18_1289:
	s_andn2_b64 vcc, exec, s[0:1]
	s_cbranch_vccnz .LBB18_1300
; %bb.1290:
	s_cmp_lt_i32 s22, 6
	s_cbranch_scc1 .LBB18_1293
; %bb.1291:
	s_cmp_gt_i32 s22, 6
	s_cbranch_scc0 .LBB18_1294
; %bb.1292:
	global_load_dwordx2 v[4:5], v[1:2], off
	s_mov_b64 s[0:1], 0
	s_waitcnt vmcnt(0)
	v_cvt_f32_f64_e32 v4, v[4:5]
	s_branch .LBB18_1295
.LBB18_1293:
	s_mov_b64 s[0:1], -1
                                        ; implicit-def: $vgpr4
	s_branch .LBB18_1298
.LBB18_1294:
	s_mov_b64 s[0:1], -1
                                        ; implicit-def: $vgpr4
.LBB18_1295:
	s_andn2_b64 vcc, exec, s[0:1]
	s_cbranch_vccnz .LBB18_1297
; %bb.1296:
	global_load_dword v4, v[1:2], off
.LBB18_1297:
	s_mov_b64 s[0:1], 0
.LBB18_1298:
	s_andn2_b64 vcc, exec, s[0:1]
	s_cbranch_vccnz .LBB18_1300
; %bb.1299:
	global_load_ushort v4, v[1:2], off
	s_waitcnt vmcnt(0)
	v_cvt_f32_f16_e32 v4, v4
.LBB18_1300:
	s_cbranch_execnz .LBB18_1320
.LBB18_1301:
	s_cmp_lt_i32 s22, 2
	s_cbranch_scc1 .LBB18_1305
; %bb.1302:
	s_cmp_lt_i32 s22, 3
	s_cbranch_scc1 .LBB18_1306
; %bb.1303:
	s_cmp_gt_i32 s22, 3
	s_cbranch_scc0 .LBB18_1307
; %bb.1304:
	global_load_dwordx2 v[4:5], v[1:2], off
	s_mov_b64 s[0:1], 0
	s_waitcnt vmcnt(0)
	v_xor_b32_e32 v8, v4, v5
	v_ffbh_i32_e32 v6, v5
	v_ashrrev_i32_e32 v8, 31, v8
	v_add_u32_e32 v6, -1, v6
	v_add_u32_e32 v8, 32, v8
	v_min_u32_e32 v6, v6, v8
	v_lshlrev_b64 v[4:5], v6, v[4:5]
	v_min_u32_e32 v4, 1, v4
	v_or_b32_e32 v4, v5, v4
	v_cvt_f32_i32_e32 v4, v4
	v_sub_u32_e32 v5, 32, v6
	v_ldexp_f32 v4, v4, v5
	s_branch .LBB18_1308
.LBB18_1305:
	s_mov_b64 s[0:1], -1
                                        ; implicit-def: $vgpr4
	s_branch .LBB18_1314
.LBB18_1306:
	s_mov_b64 s[0:1], -1
                                        ; implicit-def: $vgpr4
	s_branch .LBB18_1311
.LBB18_1307:
	s_mov_b64 s[0:1], -1
                                        ; implicit-def: $vgpr4
.LBB18_1308:
	s_andn2_b64 vcc, exec, s[0:1]
	s_cbranch_vccnz .LBB18_1310
; %bb.1309:
	global_load_dword v4, v[1:2], off
	s_waitcnt vmcnt(0)
	v_cvt_f32_i32_e32 v4, v4
.LBB18_1310:
	s_mov_b64 s[0:1], 0
.LBB18_1311:
	s_andn2_b64 vcc, exec, s[0:1]
	s_cbranch_vccnz .LBB18_1313
; %bb.1312:
	global_load_sshort v4, v[1:2], off
	s_waitcnt vmcnt(0)
	v_cvt_f32_i32_e32 v4, v4
.LBB18_1313:
	s_mov_b64 s[0:1], 0
.LBB18_1314:
	s_andn2_b64 vcc, exec, s[0:1]
	s_cbranch_vccnz .LBB18_1320
; %bb.1315:
	s_cmp_gt_i32 s22, 0
	s_cbranch_scc0 .LBB18_1317
; %bb.1316:
	global_load_sbyte v4, v[1:2], off
	s_mov_b64 s[0:1], 0
	s_waitcnt vmcnt(0)
	v_cvt_f32_i32_e32 v4, v4
	s_branch .LBB18_1318
.LBB18_1317:
	s_mov_b64 s[0:1], -1
                                        ; implicit-def: $vgpr4
.LBB18_1318:
	s_andn2_b64 vcc, exec, s[0:1]
	s_cbranch_vccnz .LBB18_1320
; %bb.1319:
	global_load_ubyte v1, v[1:2], off
	s_waitcnt vmcnt(0)
	v_cvt_f32_ubyte0_e32 v4, v1
.LBB18_1320:
.LBB18_1321:
	s_waitcnt vmcnt(0)
	v_cmp_neq_f32_e32 vcc, 0, v4
	v_mov_b32_e32 v2, 0x7f800000
	s_and_saveexec_b64 s[12:13], vcc
	s_cbranch_execz .LBB18_1329
; %bb.1322:
	v_cmp_ngt_f32_e32 vcc, 0, v4
	v_mov_b32_e32 v2, 0x7fc00000
	s_and_saveexec_b64 s[16:17], vcc
	s_cbranch_execz .LBB18_1328
; %bb.1323:
	v_cmp_ge_f32_e32 vcc, 2.0, v4
                                        ; implicit-def: $vgpr2
	s_and_saveexec_b64 s[0:1], vcc
	s_xor_b64 s[18:19], exec, s[0:1]
	s_cbranch_execz .LBB18_1325
; %bb.1324:
	v_fma_f32 v1, v4, v4, -2.0
	v_mov_b32_e32 v2, 0x293fd856
	v_fmac_f32_e32 v2, 0x251e770f, v1
	v_mov_b32_e32 v5, 0xa51e770f
	v_fmac_f32_e32 v5, v1, v2
	v_add_f32_e32 v5, 0x2d3612e2, v5
	v_fma_f32 v2, v1, v5, -v2
	v_add_f32_e32 v2, 0x3102e09b, v2
	v_fma_f32 v5, v1, v2, -v5
	;; [unrolled: 2-line block ×7, first 2 shown]
	v_mul_f32_e32 v5, 0.5, v4
	s_mov_b32 s0, 0x800000
	v_cmp_gt_f32_e32 vcc, s0, v5
	v_cndmask_b32_e64 v6, 0, 32, vcc
	v_ldexp_f32 v5, v5, v6
	v_log_f32_e32 v5, v5
	v_add_f32_e32 v1, 0xbf090b37, v1
	v_sub_f32_e32 v1, v1, v2
	s_mov_b32 s0, 0x3f317217
	v_mul_f32_e32 v2, 0x3f317217, v5
	v_fma_f32 v2, v5, s0, -v2
	v_fmac_f32_e32 v2, 0x3377d1cf, v5
	s_mov_b32 s0, 0x7f800000
	v_fmac_f32_e32 v2, 0x3f317217, v5
	v_cmp_lt_f32_e64 s[0:1], |v5|, s0
	v_cndmask_b32_e64 v2, v5, v2, s[0:1]
	v_mul_f32_e32 v5, 0x3fb8aa3b, v4
	s_mov_b32 s0, 0x3fb8aa3b
	v_rndne_f32_e32 v6, v5
	v_sub_f32_e32 v8, v5, v6
	v_fma_f32 v5, v4, s0, -v5
	v_fmac_f32_e32 v5, 0x32a5705f, v4
	v_add_f32_e32 v5, v8, v5
	v_exp_f32_e32 v5, v5
	v_cvt_i32_f32_e32 v6, v6
	v_mov_b32_e32 v8, 0x41b17218
	s_mov_b32 s0, 0xc2ce8ed0
	v_cndmask_b32_e32 v8, 0, v8, vcc
	v_ldexp_f32 v5, v5, v6
	v_cmp_ngt_f32_e32 vcc, s0, v4
	s_mov_b32 s0, 0x42b17218
	v_cndmask_b32_e32 v5, 0, v5, vcc
	v_mov_b32_e32 v6, 0x7f800000
	v_cmp_nlt_f32_e32 vcc, s0, v4
	v_cndmask_b32_e32 v5, v6, v5, vcc
	v_fma_f32 v4, v4, 0.5, -2.0
	v_mov_b32_e32 v6, 0x24199b15
	v_sub_f32_e32 v2, v2, v8
	v_fmac_f32_e32 v6, 0xa2a2e5b9, v4
	v_mov_b32_e32 v8, 0x22a2e5b9
	v_fmac_f32_e32 v8, v4, v6
	v_add_f32_e32 v8, 0xa58c275c, v8
	v_fma_f32 v6, v4, v8, -v6
	v_add_f32_e32 v6, 0x26f736c5, v6
	v_fma_f32 v8, v4, v6, -v8
	;; [unrolled: 2-line block ×27, first 2 shown]
	v_add_f32_e32 v4, 0x3f2d4275, v4
	v_sub_f32_e32 v4, v4, v6
	v_mul_f32_e32 v4, 0.5, v4
	v_mul_f32_e32 v4, v5, v4
	v_mul_f32_e32 v2, v2, v4
	v_fma_f32 v1, v1, 0.5, -v2
	v_mul_f32_e32 v2, v5, v1
                                        ; implicit-def: $vgpr4
.LBB18_1325:
	s_andn2_saveexec_b64 s[18:19], s[18:19]
	s_cbranch_execz .LBB18_1327
; %bb.1326:
	s_mov_b32 s20, 0x41000000
	v_div_scale_f32 v1, s[0:1], v4, v4, s20
	v_div_scale_f32 v2, vcc, s20, v4, s20
	s_mov_b32 s0, 0xf800000
	v_mul_f32_e32 v5, 0x4f800000, v4
	v_cmp_gt_f32_e64 s[0:1], s0, v4
	v_cndmask_b32_e64 v5, v4, v5, s[0:1]
	v_sqrt_f32_e32 v8, v5
	v_add_u32_e32 v11, 1, v8
	v_fma_f32 v13, -v11, v8, v5
	v_rcp_f32_e32 v6, v1
	v_fma_f32 v9, -v1, v6, 1.0
	v_fmac_f32_e32 v6, v9, v6
	v_mul_f32_e32 v9, v2, v6
	v_fma_f32 v10, -v1, v9, v2
	v_fmac_f32_e32 v9, v10, v6
	v_fma_f32 v1, -v1, v9, v2
	v_div_fmas_f32 v1, v1, v6, v9
	v_mov_b32_e32 v2, 0xa397f665
	v_mov_b32_e32 v6, 0xa2c38d2e
	v_add_u32_e32 v10, -1, v8
	v_fma_f32 v12, -v10, v8, v5
	v_cmp_ge_f32_e32 vcc, 0, v12
	v_cndmask_b32_e32 v8, v8, v10, vcc
	v_cmp_lt_f32_e32 vcc, 0, v13
	v_cndmask_b32_e32 v8, v8, v11, vcc
	v_mov_b32_e32 v9, 0x260
	v_mul_f32_e32 v10, 0x37800000, v8
	v_cndmask_b32_e64 v8, v8, v10, s[0:1]
	v_cmp_class_f32_e32 vcc, v5, v9
	v_cndmask_b32_e32 v5, v8, v5, vcc
	v_div_fixup_f32 v1, v1, v4, s20
	v_add_f32_e32 v1, -2.0, v1
	v_fmac_f32_e32 v2, 0x22c38d2e, v1
	v_fmac_f32_e32 v6, v1, v2
	v_add_f32_e32 v4, 0x24704972, v6
	v_fma_f32 v2, v1, v4, -v2
	v_add_f32_e32 v2, 0xa5417ca4, v2
	v_fma_f32 v4, v1, v2, -v4
	;; [unrolled: 2-line block ×22, first 2 shown]
	v_add_f32_e32 v1, 0x401c2ded, v1
	v_sub_f32_e32 v1, v1, v4
	v_mul_f32_e32 v1, 0.5, v1
	v_div_scale_f32 v2, s[0:1], v5, v5, v1
	v_div_scale_f32 v4, vcc, v1, v5, v1
	v_rcp_f32_e32 v6, v2
	v_fma_f32 v8, -v2, v6, 1.0
	v_fmac_f32_e32 v6, v8, v6
	v_mul_f32_e32 v8, v4, v6
	v_fma_f32 v9, -v2, v8, v4
	v_fmac_f32_e32 v8, v9, v6
	v_fma_f32 v2, -v2, v8, v4
	v_div_fmas_f32 v2, v2, v6, v8
	v_div_fixup_f32 v2, v2, v5, v1
.LBB18_1327:
	s_or_b64 exec, exec, s[18:19]
.LBB18_1328:
	s_or_b64 exec, exec, s[16:17]
.LBB18_1329:
	s_or_b64 exec, exec, s[12:13]
	v_add_u32_e32 v1, s3, v3
	v_ashrrev_i32_e32 v4, 31, v1
	v_mov_b32_e32 v5, s11
	v_add_co_u32_e32 v3, vcc, s10, v1
	s_cmp_lt_i32 s22, 11
	v_addc_co_u32_e32 v4, vcc, v5, v4, vcc
	s_cbranch_scc1 .LBB18_1336
; %bb.1330:
	s_cmp_gt_i32 s22, 25
	s_mov_b64 s[12:13], 0
	s_cbranch_scc0 .LBB18_1338
; %bb.1331:
	s_cmp_gt_i32 s22, 28
	s_cbranch_scc0 .LBB18_1339
; %bb.1332:
	s_cmp_gt_i32 s22, 43
	;; [unrolled: 3-line block ×3, first 2 shown]
	s_cbranch_scc0 .LBB18_1342
; %bb.1334:
	s_cmp_eq_u32 s22, 46
	s_mov_b64 s[18:19], 0
	s_cbranch_scc0 .LBB18_1343
; %bb.1335:
	global_load_dword v5, v[3:4], off
	s_mov_b64 s[0:1], 0
	s_mov_b64 s[16:17], -1
	s_waitcnt vmcnt(0)
	v_lshlrev_b32_e32 v5, 16, v5
	s_branch .LBB18_1344
.LBB18_1336:
	s_mov_b64 s[16:17], 0
                                        ; implicit-def: $vgpr5
	s_cbranch_execnz .LBB18_1410
.LBB18_1337:
	s_andn2_b64 vcc, exec, s[16:17]
	s_cbranch_vccnz .LBB18_1682
	s_branch .LBB18_1458
.LBB18_1338:
	s_mov_b64 s[18:19], -1
	s_mov_b64 s[16:17], 0
	s_mov_b64 s[0:1], 0
                                        ; implicit-def: $vgpr5
	s_branch .LBB18_1373
.LBB18_1339:
	s_mov_b64 s[18:19], -1
	s_mov_b64 s[16:17], 0
	s_mov_b64 s[0:1], 0
                                        ; implicit-def: $vgpr5
	s_branch .LBB18_1354
.LBB18_1340:
	s_mov_b64 s[18:19], -1
	s_mov_b64 s[16:17], 0
	s_mov_b64 s[0:1], 0
                                        ; implicit-def: $vgpr5
	s_branch .LBB18_1349
.LBB18_1341:
	s_trap 2
	s_or_b64 s[14:15], s[14:15], exec
	s_cbranch_execz .LBB18_1272
	s_branch .LBB18_1273
.LBB18_1342:
	s_mov_b64 s[18:19], -1
	s_mov_b64 s[16:17], 0
	s_mov_b64 s[0:1], 0
                                        ; implicit-def: $vgpr5
	s_branch .LBB18_1344
.LBB18_1343:
	s_mov_b64 s[0:1], -1
                                        ; implicit-def: $vgpr5
	s_mov_b64 s[16:17], 0
.LBB18_1344:
	s_and_b64 vcc, exec, s[18:19]
	s_cbranch_vccz .LBB18_1348
; %bb.1345:
	s_cmp_eq_u32 s22, 44
	s_cbranch_scc0 .LBB18_1347
; %bb.1346:
	global_load_ubyte v5, v[3:4], off
	s_movk_i32 s16, 0xff
	v_mov_b32_e32 v6, 0x7f800001
	v_mov_b32_e32 v8, 0x400000
	s_mov_b64 s[0:1], 0
	s_waitcnt vmcnt(0)
	v_lshlrev_b32_e32 v9, 23, v5
	v_cmp_ne_u32_e32 vcc, s16, v5
	v_cndmask_b32_e32 v6, v6, v9, vcc
	v_cmp_ne_u32_e32 vcc, 0, v5
	v_cndmask_b32_e32 v5, v8, v6, vcc
	s_mov_b64 s[16:17], -1
	s_branch .LBB18_1348
.LBB18_1347:
	s_mov_b64 s[0:1], -1
                                        ; implicit-def: $vgpr5
.LBB18_1348:
	s_mov_b64 s[18:19], 0
.LBB18_1349:
	s_and_b64 vcc, exec, s[18:19]
	s_cbranch_vccz .LBB18_1353
; %bb.1350:
	s_cmp_eq_u32 s22, 29
	s_cbranch_scc0 .LBB18_1352
; %bb.1351:
	global_load_dwordx2 v[5:6], v[3:4], off
	s_mov_b64 s[0:1], 0
	s_mov_b64 s[16:17], -1
	s_mov_b64 s[18:19], 0
	s_waitcnt vmcnt(0)
	v_ffbh_u32_e32 v8, v6
	v_min_u32_e32 v8, 32, v8
	v_lshlrev_b64 v[5:6], v8, v[5:6]
	v_min_u32_e32 v5, 1, v5
	v_or_b32_e32 v5, v6, v5
	v_cvt_f32_u32_e32 v5, v5
	v_sub_u32_e32 v6, 32, v8
	v_ldexp_f32 v5, v5, v6
	s_branch .LBB18_1354
.LBB18_1352:
	s_mov_b64 s[0:1], -1
                                        ; implicit-def: $vgpr5
.LBB18_1353:
	s_mov_b64 s[18:19], 0
.LBB18_1354:
	s_and_b64 vcc, exec, s[18:19]
	s_cbranch_vccz .LBB18_1372
; %bb.1355:
	s_cmp_lt_i32 s22, 27
	s_cbranch_scc1 .LBB18_1358
; %bb.1356:
	s_cmp_gt_i32 s22, 27
	s_cbranch_scc0 .LBB18_1359
; %bb.1357:
	global_load_dword v5, v[3:4], off
	s_mov_b64 s[16:17], 0
	s_waitcnt vmcnt(0)
	v_cvt_f32_u32_e32 v5, v5
	s_branch .LBB18_1360
.LBB18_1358:
	s_mov_b64 s[16:17], -1
                                        ; implicit-def: $vgpr5
	s_branch .LBB18_1363
.LBB18_1359:
	s_mov_b64 s[16:17], -1
                                        ; implicit-def: $vgpr5
.LBB18_1360:
	s_andn2_b64 vcc, exec, s[16:17]
	s_cbranch_vccnz .LBB18_1362
; %bb.1361:
	global_load_ushort v5, v[3:4], off
	s_waitcnt vmcnt(0)
	v_cvt_f32_u32_e32 v5, v5
.LBB18_1362:
	s_mov_b64 s[16:17], 0
.LBB18_1363:
	s_andn2_b64 vcc, exec, s[16:17]
	s_cbranch_vccnz .LBB18_1371
; %bb.1364:
	global_load_ubyte v6, v[3:4], off
	s_movk_i32 s16, 0x7f
	s_waitcnt vmcnt(0)
	v_cmp_lt_i16_e32 vcc, s16, v6
	s_mov_b64 s[16:17], 0
	s_and_saveexec_b64 s[18:19], vcc
	s_xor_b64 s[18:19], exec, s[18:19]
	s_cbranch_execz .LBB18_1385
; %bb.1365:
	s_movk_i32 s16, 0x80
	v_cmp_eq_u16_e32 vcc, s16, v6
	s_mov_b64 s[16:17], -1
	s_and_saveexec_b64 s[20:21], vcc
; %bb.1366:
	s_xor_b64 s[16:17], exec, -1
; %bb.1367:
	s_or_b64 exec, exec, s[20:21]
	s_and_b64 s[16:17], s[16:17], exec
	s_or_saveexec_b64 s[18:19], s[18:19]
	v_mov_b32_e32 v5, 0x7f800001
	s_xor_b64 exec, exec, s[18:19]
	s_cbranch_execnz .LBB18_1386
.LBB18_1368:
	s_or_b64 exec, exec, s[18:19]
	s_and_saveexec_b64 s[18:19], s[16:17]
	s_cbranch_execz .LBB18_1370
.LBB18_1369:
	v_lshlrev_b32_e32 v5, 24, v6
	v_and_b32_e32 v6, 0xffff, v6
	v_and_b32_e32 v8, 7, v6
	v_ffbh_u32_e32 v10, v8
	v_min_u32_e32 v10, 32, v10
	v_subrev_u32_e32 v11, 28, v10
	v_bfe_u32 v9, v6, 3, 4
	v_lshlrev_b32_e32 v6, v11, v6
	v_sub_u32_e32 v10, 29, v10
	v_and_b32_e32 v6, 7, v6
	v_cmp_eq_u32_e32 vcc, 0, v9
	v_cndmask_b32_e32 v9, v9, v10, vcc
	v_cndmask_b32_e32 v6, v8, v6, vcc
	v_mov_b32_e32 v8, 0x3b800000
	v_lshlrev_b32_e32 v6, 20, v6
	v_and_b32_e32 v5, 0x80000000, v5
	v_lshl_add_u32 v8, v9, 23, v8
	v_or3_b32 v5, v5, v8, v6
.LBB18_1370:
	s_or_b64 exec, exec, s[18:19]
.LBB18_1371:
	s_mov_b64 s[16:17], -1
.LBB18_1372:
	s_mov_b64 s[18:19], 0
.LBB18_1373:
	s_and_b64 vcc, exec, s[18:19]
	s_cbranch_vccz .LBB18_1406
; %bb.1374:
	s_cmp_gt_i32 s22, 22
	s_cbranch_scc0 .LBB18_1384
; %bb.1375:
	s_cmp_lt_i32 s22, 24
	s_cbranch_scc1 .LBB18_1387
; %bb.1376:
	s_cmp_gt_i32 s22, 24
	s_cbranch_scc0 .LBB18_1388
; %bb.1377:
	global_load_ubyte v6, v[3:4], off
	s_movk_i32 s12, 0x7f
	s_waitcnt vmcnt(0)
	v_cmp_lt_i16_e32 vcc, s12, v6
	s_mov_b64 s[12:13], 0
	s_and_saveexec_b64 s[16:17], vcc
	s_xor_b64 s[16:17], exec, s[16:17]
	s_cbranch_execz .LBB18_1400
; %bb.1378:
	s_movk_i32 s12, 0x80
	v_cmp_eq_u16_e32 vcc, s12, v6
	s_mov_b64 s[12:13], -1
	s_and_saveexec_b64 s[18:19], vcc
; %bb.1379:
	s_xor_b64 s[12:13], exec, -1
; %bb.1380:
	s_or_b64 exec, exec, s[18:19]
	s_and_b64 s[12:13], s[12:13], exec
	s_or_saveexec_b64 s[16:17], s[16:17]
	v_mov_b32_e32 v5, 0x7f800001
	s_xor_b64 exec, exec, s[16:17]
	s_cbranch_execnz .LBB18_1401
.LBB18_1381:
	s_or_b64 exec, exec, s[16:17]
	s_and_saveexec_b64 s[16:17], s[12:13]
	s_cbranch_execz .LBB18_1383
.LBB18_1382:
	v_lshlrev_b32_e32 v5, 24, v6
	v_and_b32_e32 v6, 0xffff, v6
	v_and_b32_e32 v8, 3, v6
	v_ffbh_u32_e32 v10, v8
	v_min_u32_e32 v10, 32, v10
	v_subrev_u32_e32 v11, 29, v10
	v_bfe_u32 v9, v6, 2, 5
	v_lshlrev_b32_e32 v6, v11, v6
	v_sub_u32_e32 v10, 30, v10
	v_and_b32_e32 v6, 3, v6
	v_cmp_eq_u32_e32 vcc, 0, v9
	v_cndmask_b32_e32 v9, v9, v10, vcc
	v_cndmask_b32_e32 v6, v8, v6, vcc
	v_mov_b32_e32 v8, 0x37800000
	v_lshlrev_b32_e32 v6, 21, v6
	v_and_b32_e32 v5, 0x80000000, v5
	v_lshl_add_u32 v8, v9, 23, v8
	v_or3_b32 v5, v5, v8, v6
.LBB18_1383:
	s_or_b64 exec, exec, s[16:17]
	s_mov_b64 s[12:13], 0
	s_branch .LBB18_1389
.LBB18_1384:
	s_mov_b64 s[12:13], -1
                                        ; implicit-def: $vgpr5
	s_branch .LBB18_1395
.LBB18_1385:
	s_or_saveexec_b64 s[18:19], s[18:19]
	v_mov_b32_e32 v5, 0x7f800001
	s_xor_b64 exec, exec, s[18:19]
	s_cbranch_execz .LBB18_1368
.LBB18_1386:
	v_cmp_ne_u16_e32 vcc, 0, v6
	s_andn2_b64 s[16:17], s[16:17], exec
	s_and_b64 s[20:21], vcc, exec
	v_mov_b32_e32 v5, 0
	s_or_b64 s[16:17], s[16:17], s[20:21]
	s_or_b64 exec, exec, s[18:19]
	s_and_saveexec_b64 s[18:19], s[16:17]
	s_cbranch_execnz .LBB18_1369
	s_branch .LBB18_1370
.LBB18_1387:
	s_mov_b64 s[12:13], -1
                                        ; implicit-def: $vgpr5
	s_branch .LBB18_1392
.LBB18_1388:
	s_mov_b64 s[12:13], -1
                                        ; implicit-def: $vgpr5
.LBB18_1389:
	s_and_b64 vcc, exec, s[12:13]
	s_cbranch_vccz .LBB18_1391
; %bb.1390:
	global_load_ubyte v5, v[3:4], off
	s_mov_b32 s12, 0x7f800000
	s_waitcnt vmcnt(0)
	v_lshlrev_b32_e32 v5, 24, v5
	v_and_b32_e32 v6, 0x7f000000, v5
	v_ffbh_u32_e32 v8, v6
	v_min_u32_e32 v8, 32, v8
	v_sub_u32_e64 v8, v8, 4 clamp
	v_lshlrev_b32_e32 v10, v8, v6
	v_lshlrev_b32_e32 v8, 23, v8
	v_lshrrev_b32_e32 v10, 4, v10
	v_add_u32_e32 v9, 0x1000000, v6
	v_sub_u32_e32 v8, v10, v8
	v_ashrrev_i32_e32 v9, 8, v9
	v_add_u32_e32 v8, 0x3c000000, v8
	v_and_or_b32 v8, v9, s12, v8
	v_cmp_ne_u32_e32 vcc, 0, v6
	v_cndmask_b32_e32 v6, 0, v8, vcc
	s_brev_b32 s12, 1
	v_and_or_b32 v5, v5, s12, v6
.LBB18_1391:
	s_mov_b64 s[12:13], 0
.LBB18_1392:
	s_andn2_b64 vcc, exec, s[12:13]
	s_cbranch_vccnz .LBB18_1394
; %bb.1393:
	global_load_ubyte v5, v[3:4], off
	s_movk_i32 s12, 0x7f00
	s_brev_b32 s13, 16
	s_waitcnt vmcnt(0)
	v_lshlrev_b16_e32 v6, 8, v5
	v_lshlrev_b32_e32 v5, 25, v5
	v_lshrrev_b32_e32 v8, 4, v5
	v_and_or_b32 v9, v6, s12, 0.5
	v_or_b32_e32 v8, 0x70000000, v8
	v_add_f32_e32 v9, -0.5, v9
	v_mul_f32_e32 v8, 0x7800000, v8
	v_cmp_gt_u32_e32 vcc, s13, v5
	v_bfe_i32 v6, v6, 0, 16
	v_cndmask_b32_e32 v5, v8, v9, vcc
	s_brev_b32 s12, 1
	v_and_or_b32 v5, v6, s12, v5
.LBB18_1394:
	s_mov_b64 s[12:13], 0
	s_mov_b64 s[16:17], -1
.LBB18_1395:
	s_andn2_b64 vcc, exec, s[12:13]
	s_mov_b64 s[12:13], 0
	s_cbranch_vccnz .LBB18_1406
; %bb.1396:
	s_cmp_gt_i32 s22, 14
	s_cbranch_scc0 .LBB18_1399
; %bb.1397:
	s_cmp_eq_u32 s22, 15
	s_cbranch_scc0 .LBB18_1402
; %bb.1398:
	global_load_ushort v5, v[3:4], off
	s_mov_b64 s[0:1], 0
	s_mov_b64 s[16:17], -1
	s_waitcnt vmcnt(0)
	v_lshlrev_b32_e32 v5, 16, v5
	s_branch .LBB18_1403
.LBB18_1399:
	s_mov_b64 s[18:19], -1
                                        ; implicit-def: $vgpr5
	s_branch .LBB18_1404
.LBB18_1400:
	s_or_saveexec_b64 s[16:17], s[16:17]
	v_mov_b32_e32 v5, 0x7f800001
	s_xor_b64 exec, exec, s[16:17]
	s_cbranch_execz .LBB18_1381
.LBB18_1401:
	v_cmp_ne_u16_e32 vcc, 0, v6
	s_andn2_b64 s[12:13], s[12:13], exec
	s_and_b64 s[18:19], vcc, exec
	v_mov_b32_e32 v5, 0
	s_or_b64 s[12:13], s[12:13], s[18:19]
	s_or_b64 exec, exec, s[16:17]
	s_and_saveexec_b64 s[16:17], s[12:13]
	s_cbranch_execnz .LBB18_1382
	s_branch .LBB18_1383
.LBB18_1402:
	s_mov_b64 s[0:1], -1
                                        ; implicit-def: $vgpr5
.LBB18_1403:
	s_mov_b64 s[18:19], 0
.LBB18_1404:
	s_and_b64 vcc, exec, s[18:19]
	s_cbranch_vccz .LBB18_1406
; %bb.1405:
	s_cmp_lg_u32 s22, 11
	s_mov_b64 s[12:13], -1
	s_cselect_b64 s[0:1], -1, 0
.LBB18_1406:
	s_and_b64 vcc, exec, s[0:1]
	s_cbranch_vccnz .LBB18_1477
; %bb.1407:
	s_andn2_b64 vcc, exec, s[12:13]
	s_cbranch_vccnz .LBB18_1409
.LBB18_1408:
	global_load_ubyte v5, v[3:4], off
	s_mov_b64 s[16:17], -1
	s_waitcnt vmcnt(0)
	v_cmp_ne_u16_e32 vcc, 0, v5
	v_cndmask_b32_e64 v5, 0, 1.0, vcc
.LBB18_1409:
	s_branch .LBB18_1337
.LBB18_1410:
	s_cmp_lt_i32 s22, 5
	s_cbranch_scc1 .LBB18_1415
; %bb.1411:
	s_cmp_lt_i32 s22, 8
	s_cbranch_scc1 .LBB18_1416
; %bb.1412:
	;; [unrolled: 3-line block ×3, first 2 shown]
	s_cmp_gt_i32 s22, 9
	s_cbranch_scc0 .LBB18_1418
; %bb.1414:
	global_load_dwordx2 v[5:6], v[3:4], off
	s_mov_b64 s[0:1], 0
	s_waitcnt vmcnt(0)
	v_cvt_f32_f64_e32 v5, v[5:6]
	s_branch .LBB18_1419
.LBB18_1415:
	s_mov_b64 s[0:1], -1
                                        ; implicit-def: $vgpr5
	s_branch .LBB18_1437
.LBB18_1416:
	s_mov_b64 s[0:1], -1
                                        ; implicit-def: $vgpr5
	s_branch .LBB18_1425
.LBB18_1417:
	s_mov_b64 s[0:1], -1
                                        ; implicit-def: $vgpr5
	s_branch .LBB18_1422
.LBB18_1418:
	s_mov_b64 s[0:1], -1
                                        ; implicit-def: $vgpr5
.LBB18_1419:
	s_andn2_b64 vcc, exec, s[0:1]
	s_cbranch_vccnz .LBB18_1421
; %bb.1420:
	global_load_dword v5, v[3:4], off
.LBB18_1421:
	s_mov_b64 s[0:1], 0
.LBB18_1422:
	s_andn2_b64 vcc, exec, s[0:1]
	s_cbranch_vccnz .LBB18_1424
; %bb.1423:
	global_load_dword v5, v[3:4], off
	s_waitcnt vmcnt(0)
	v_cvt_f32_f16_e32 v5, v5
.LBB18_1424:
	s_mov_b64 s[0:1], 0
.LBB18_1425:
	s_andn2_b64 vcc, exec, s[0:1]
	s_cbranch_vccnz .LBB18_1436
; %bb.1426:
	s_cmp_lt_i32 s22, 6
	s_cbranch_scc1 .LBB18_1429
; %bb.1427:
	s_cmp_gt_i32 s22, 6
	s_cbranch_scc0 .LBB18_1430
; %bb.1428:
	global_load_dwordx2 v[5:6], v[3:4], off
	s_mov_b64 s[0:1], 0
	s_waitcnt vmcnt(0)
	v_cvt_f32_f64_e32 v5, v[5:6]
	s_branch .LBB18_1431
.LBB18_1429:
	s_mov_b64 s[0:1], -1
                                        ; implicit-def: $vgpr5
	s_branch .LBB18_1434
.LBB18_1430:
	s_mov_b64 s[0:1], -1
                                        ; implicit-def: $vgpr5
.LBB18_1431:
	s_andn2_b64 vcc, exec, s[0:1]
	s_cbranch_vccnz .LBB18_1433
; %bb.1432:
	global_load_dword v5, v[3:4], off
.LBB18_1433:
	s_mov_b64 s[0:1], 0
.LBB18_1434:
	s_andn2_b64 vcc, exec, s[0:1]
	s_cbranch_vccnz .LBB18_1436
; %bb.1435:
	global_load_ushort v5, v[3:4], off
	s_waitcnt vmcnt(0)
	v_cvt_f32_f16_e32 v5, v5
.LBB18_1436:
	s_mov_b64 s[0:1], 0
.LBB18_1437:
	s_andn2_b64 vcc, exec, s[0:1]
	s_cbranch_vccnz .LBB18_1457
; %bb.1438:
	s_cmp_lt_i32 s22, 2
	s_cbranch_scc1 .LBB18_1442
; %bb.1439:
	s_cmp_lt_i32 s22, 3
	s_cbranch_scc1 .LBB18_1443
; %bb.1440:
	s_cmp_gt_i32 s22, 3
	s_cbranch_scc0 .LBB18_1444
; %bb.1441:
	global_load_dwordx2 v[5:6], v[3:4], off
	s_mov_b64 s[0:1], 0
	s_waitcnt vmcnt(0)
	v_xor_b32_e32 v9, v5, v6
	v_ffbh_i32_e32 v8, v6
	v_ashrrev_i32_e32 v9, 31, v9
	v_add_u32_e32 v8, -1, v8
	v_add_u32_e32 v9, 32, v9
	v_min_u32_e32 v8, v8, v9
	v_lshlrev_b64 v[5:6], v8, v[5:6]
	v_min_u32_e32 v5, 1, v5
	v_or_b32_e32 v5, v6, v5
	v_cvt_f32_i32_e32 v5, v5
	v_sub_u32_e32 v6, 32, v8
	v_ldexp_f32 v5, v5, v6
	s_branch .LBB18_1445
.LBB18_1442:
	s_mov_b64 s[0:1], -1
                                        ; implicit-def: $vgpr5
	s_branch .LBB18_1451
.LBB18_1443:
	s_mov_b64 s[0:1], -1
                                        ; implicit-def: $vgpr5
	s_branch .LBB18_1448
.LBB18_1444:
	s_mov_b64 s[0:1], -1
                                        ; implicit-def: $vgpr5
.LBB18_1445:
	s_andn2_b64 vcc, exec, s[0:1]
	s_cbranch_vccnz .LBB18_1447
; %bb.1446:
	global_load_dword v5, v[3:4], off
	s_waitcnt vmcnt(0)
	v_cvt_f32_i32_e32 v5, v5
.LBB18_1447:
	s_mov_b64 s[0:1], 0
.LBB18_1448:
	s_andn2_b64 vcc, exec, s[0:1]
	s_cbranch_vccnz .LBB18_1450
; %bb.1449:
	global_load_sshort v5, v[3:4], off
	s_waitcnt vmcnt(0)
	v_cvt_f32_i32_e32 v5, v5
.LBB18_1450:
	s_mov_b64 s[0:1], 0
.LBB18_1451:
	s_andn2_b64 vcc, exec, s[0:1]
	s_cbranch_vccnz .LBB18_1457
; %bb.1452:
	s_cmp_gt_i32 s22, 0
	s_cbranch_scc0 .LBB18_1454
; %bb.1453:
	global_load_sbyte v5, v[3:4], off
	s_mov_b64 s[0:1], 0
	s_waitcnt vmcnt(0)
	v_cvt_f32_i32_e32 v5, v5
	s_branch .LBB18_1455
.LBB18_1454:
	s_mov_b64 s[0:1], -1
                                        ; implicit-def: $vgpr5
.LBB18_1455:
	s_andn2_b64 vcc, exec, s[0:1]
	s_cbranch_vccnz .LBB18_1457
; %bb.1456:
	global_load_ubyte v3, v[3:4], off
	s_waitcnt vmcnt(0)
	v_cvt_f32_ubyte0_e32 v5, v3
.LBB18_1457:
.LBB18_1458:
	s_waitcnt vmcnt(0)
	v_cmp_neq_f32_e32 vcc, 0, v5
	v_mov_b32_e32 v4, 0x7f800000
	s_and_saveexec_b64 s[12:13], vcc
	s_cbranch_execz .LBB18_1466
; %bb.1459:
	v_cmp_ngt_f32_e32 vcc, 0, v5
	v_mov_b32_e32 v4, 0x7fc00000
	s_and_saveexec_b64 s[16:17], vcc
	s_cbranch_execz .LBB18_1465
; %bb.1460:
	v_cmp_ge_f32_e32 vcc, 2.0, v5
                                        ; implicit-def: $vgpr4
	s_and_saveexec_b64 s[0:1], vcc
	s_xor_b64 s[18:19], exec, s[0:1]
	s_cbranch_execz .LBB18_1462
; %bb.1461:
	v_fma_f32 v3, v5, v5, -2.0
	v_mov_b32_e32 v4, 0x293fd856
	v_fmac_f32_e32 v4, 0x251e770f, v3
	v_mov_b32_e32 v6, 0xa51e770f
	v_fmac_f32_e32 v6, v3, v4
	v_add_f32_e32 v6, 0x2d3612e2, v6
	v_fma_f32 v4, v3, v6, -v4
	v_add_f32_e32 v4, 0x3102e09b, v4
	v_fma_f32 v6, v3, v4, -v6
	;; [unrolled: 2-line block ×7, first 2 shown]
	v_mul_f32_e32 v6, 0.5, v5
	s_mov_b32 s0, 0x800000
	v_cmp_gt_f32_e32 vcc, s0, v6
	v_cndmask_b32_e64 v8, 0, 32, vcc
	v_ldexp_f32 v6, v6, v8
	v_log_f32_e32 v6, v6
	v_add_f32_e32 v3, 0xbf090b37, v3
	v_sub_f32_e32 v3, v3, v4
	s_mov_b32 s0, 0x3f317217
	v_mul_f32_e32 v4, 0x3f317217, v6
	v_fma_f32 v4, v6, s0, -v4
	v_fmac_f32_e32 v4, 0x3377d1cf, v6
	s_mov_b32 s0, 0x7f800000
	v_fmac_f32_e32 v4, 0x3f317217, v6
	v_cmp_lt_f32_e64 s[0:1], |v6|, s0
	v_cndmask_b32_e64 v4, v6, v4, s[0:1]
	v_mul_f32_e32 v6, 0x3fb8aa3b, v5
	s_mov_b32 s0, 0x3fb8aa3b
	v_rndne_f32_e32 v8, v6
	v_sub_f32_e32 v9, v6, v8
	v_fma_f32 v6, v5, s0, -v6
	v_fmac_f32_e32 v6, 0x32a5705f, v5
	v_add_f32_e32 v6, v9, v6
	v_exp_f32_e32 v6, v6
	v_cvt_i32_f32_e32 v8, v8
	v_mov_b32_e32 v9, 0x41b17218
	s_mov_b32 s0, 0xc2ce8ed0
	v_cndmask_b32_e32 v9, 0, v9, vcc
	v_ldexp_f32 v6, v6, v8
	v_cmp_ngt_f32_e32 vcc, s0, v5
	s_mov_b32 s0, 0x42b17218
	v_cndmask_b32_e32 v6, 0, v6, vcc
	v_mov_b32_e32 v8, 0x7f800000
	v_cmp_nlt_f32_e32 vcc, s0, v5
	v_cndmask_b32_e32 v6, v8, v6, vcc
	v_fma_f32 v5, v5, 0.5, -2.0
	v_mov_b32_e32 v8, 0x24199b15
	v_sub_f32_e32 v4, v4, v9
	v_fmac_f32_e32 v8, 0xa2a2e5b9, v5
	v_mov_b32_e32 v9, 0x22a2e5b9
	v_fmac_f32_e32 v9, v5, v8
	v_add_f32_e32 v9, 0xa58c275c, v9
	v_fma_f32 v8, v5, v9, -v8
	v_add_f32_e32 v8, 0x26f736c5, v8
	v_fma_f32 v9, v5, v8, -v9
	;; [unrolled: 2-line block ×27, first 2 shown]
	v_add_f32_e32 v5, 0x3f2d4275, v5
	v_sub_f32_e32 v5, v5, v8
	v_mul_f32_e32 v5, 0.5, v5
	v_mul_f32_e32 v5, v6, v5
	v_mul_f32_e32 v4, v4, v5
	v_fma_f32 v3, v3, 0.5, -v4
	v_mul_f32_e32 v4, v6, v3
                                        ; implicit-def: $vgpr5
.LBB18_1462:
	s_andn2_saveexec_b64 s[18:19], s[18:19]
	s_cbranch_execz .LBB18_1464
; %bb.1463:
	s_mov_b32 s20, 0x41000000
	v_div_scale_f32 v3, s[0:1], v5, v5, s20
	v_div_scale_f32 v4, vcc, s20, v5, s20
	s_mov_b32 s0, 0xf800000
	v_mul_f32_e32 v6, 0x4f800000, v5
	v_cmp_gt_f32_e64 s[0:1], s0, v5
	v_cndmask_b32_e64 v6, v5, v6, s[0:1]
	v_sqrt_f32_e32 v9, v6
	v_add_u32_e32 v12, 1, v9
	v_fma_f32 v14, -v12, v9, v6
	v_rcp_f32_e32 v8, v3
	v_fma_f32 v10, -v3, v8, 1.0
	v_fmac_f32_e32 v8, v10, v8
	v_mul_f32_e32 v10, v4, v8
	v_fma_f32 v11, -v3, v10, v4
	v_fmac_f32_e32 v10, v11, v8
	v_fma_f32 v3, -v3, v10, v4
	v_div_fmas_f32 v3, v3, v8, v10
	v_mov_b32_e32 v4, 0xa397f665
	v_mov_b32_e32 v8, 0xa2c38d2e
	v_add_u32_e32 v11, -1, v9
	v_fma_f32 v13, -v11, v9, v6
	v_cmp_ge_f32_e32 vcc, 0, v13
	v_cndmask_b32_e32 v9, v9, v11, vcc
	v_cmp_lt_f32_e32 vcc, 0, v14
	v_cndmask_b32_e32 v9, v9, v12, vcc
	v_mov_b32_e32 v10, 0x260
	v_mul_f32_e32 v11, 0x37800000, v9
	v_cndmask_b32_e64 v9, v9, v11, s[0:1]
	v_cmp_class_f32_e32 vcc, v6, v10
	v_cndmask_b32_e32 v6, v9, v6, vcc
	v_div_fixup_f32 v3, v3, v5, s20
	v_add_f32_e32 v3, -2.0, v3
	v_fmac_f32_e32 v4, 0x22c38d2e, v3
	v_fmac_f32_e32 v8, v3, v4
	v_add_f32_e32 v5, 0x24704972, v8
	v_fma_f32 v4, v3, v5, -v4
	v_add_f32_e32 v4, 0xa5417ca4, v4
	v_fma_f32 v5, v3, v4, -v5
	;; [unrolled: 2-line block ×22, first 2 shown]
	v_add_f32_e32 v3, 0x401c2ded, v3
	v_sub_f32_e32 v3, v3, v5
	v_mul_f32_e32 v3, 0.5, v3
	v_div_scale_f32 v4, s[0:1], v6, v6, v3
	v_div_scale_f32 v5, vcc, v3, v6, v3
	v_rcp_f32_e32 v8, v4
	v_fma_f32 v9, -v4, v8, 1.0
	v_fmac_f32_e32 v8, v9, v8
	v_mul_f32_e32 v9, v5, v8
	v_fma_f32 v10, -v4, v9, v5
	v_fmac_f32_e32 v9, v10, v8
	v_fma_f32 v4, -v4, v9, v5
	v_div_fmas_f32 v4, v4, v8, v9
	v_div_fixup_f32 v4, v4, v6, v3
.LBB18_1464:
	s_or_b64 exec, exec, s[18:19]
.LBB18_1465:
	s_or_b64 exec, exec, s[16:17]
.LBB18_1466:
	s_or_b64 exec, exec, s[12:13]
	v_add_u32_e32 v1, s3, v1
	v_ashrrev_i32_e32 v3, 31, v1
	v_mov_b32_e32 v6, s11
	v_add_co_u32_e32 v5, vcc, s10, v1
	s_cmp_lt_i32 s22, 11
	v_addc_co_u32_e32 v6, vcc, v6, v3, vcc
	s_cbranch_scc1 .LBB18_1473
; %bb.1467:
	s_cmp_gt_i32 s22, 25
	s_mov_b64 s[10:11], 0
	s_cbranch_scc0 .LBB18_1474
; %bb.1468:
	s_cmp_gt_i32 s22, 28
	s_cbranch_scc0 .LBB18_1475
; %bb.1469:
	s_cmp_gt_i32 s22, 43
	;; [unrolled: 3-line block ×3, first 2 shown]
	s_cbranch_scc0 .LBB18_1478
; %bb.1471:
	s_cmp_eq_u32 s22, 46
	s_mov_b64 s[16:17], 0
	s_cbranch_scc0 .LBB18_1479
; %bb.1472:
	global_load_dword v1, v[5:6], off
	s_mov_b64 s[0:1], 0
	s_mov_b64 s[12:13], -1
	s_waitcnt vmcnt(0)
	v_lshlrev_b32_e32 v1, 16, v1
	s_branch .LBB18_1480
.LBB18_1473:
	s_mov_b64 s[0:1], -1
	s_mov_b64 s[12:13], 0
                                        ; implicit-def: $vgpr1
	s_branch .LBB18_1546
.LBB18_1474:
	s_mov_b64 s[16:17], -1
	s_mov_b64 s[12:13], 0
	s_mov_b64 s[0:1], 0
                                        ; implicit-def: $vgpr1
	s_branch .LBB18_1509
.LBB18_1475:
	s_mov_b64 s[16:17], -1
	s_mov_b64 s[12:13], 0
	s_mov_b64 s[0:1], 0
                                        ; implicit-def: $vgpr1
	s_branch .LBB18_1490
.LBB18_1476:
	s_mov_b64 s[16:17], -1
	s_mov_b64 s[12:13], 0
	s_mov_b64 s[0:1], 0
                                        ; implicit-def: $vgpr1
	s_branch .LBB18_1485
.LBB18_1477:
	s_trap 2
	s_or_b64 s[14:15], s[14:15], exec
	s_cbranch_execz .LBB18_1408
	s_branch .LBB18_1409
.LBB18_1478:
	s_mov_b64 s[16:17], -1
	s_mov_b64 s[12:13], 0
	s_mov_b64 s[0:1], 0
                                        ; implicit-def: $vgpr1
	s_branch .LBB18_1480
.LBB18_1479:
	s_mov_b64 s[0:1], -1
                                        ; implicit-def: $vgpr1
	s_mov_b64 s[12:13], 0
.LBB18_1480:
	s_and_b64 vcc, exec, s[16:17]
	s_cbranch_vccz .LBB18_1484
; %bb.1481:
	s_cmp_eq_u32 s22, 44
	s_cbranch_scc0 .LBB18_1483
; %bb.1482:
	global_load_ubyte v1, v[5:6], off
	s_movk_i32 s3, 0xff
	v_mov_b32_e32 v3, 0x7f800001
	v_mov_b32_e32 v8, 0x400000
	s_mov_b64 s[0:1], 0
	s_mov_b64 s[12:13], -1
	s_waitcnt vmcnt(0)
	v_lshlrev_b32_e32 v9, 23, v1
	v_cmp_ne_u32_e32 vcc, s3, v1
	v_cndmask_b32_e32 v3, v3, v9, vcc
	v_cmp_ne_u32_e32 vcc, 0, v1
	v_cndmask_b32_e32 v1, v8, v3, vcc
	s_branch .LBB18_1484
.LBB18_1483:
	s_mov_b64 s[0:1], -1
                                        ; implicit-def: $vgpr1
.LBB18_1484:
	s_mov_b64 s[16:17], 0
.LBB18_1485:
	s_and_b64 vcc, exec, s[16:17]
	s_cbranch_vccz .LBB18_1489
; %bb.1486:
	s_cmp_eq_u32 s22, 29
	s_cbranch_scc0 .LBB18_1488
; %bb.1487:
	global_load_dwordx2 v[8:9], v[5:6], off
	s_mov_b64 s[0:1], 0
	s_mov_b64 s[12:13], -1
	s_mov_b64 s[16:17], 0
	s_waitcnt vmcnt(0)
	v_ffbh_u32_e32 v1, v9
	v_min_u32_e32 v1, 32, v1
	v_lshlrev_b64 v[8:9], v1, v[8:9]
	v_sub_u32_e32 v1, 32, v1
	v_min_u32_e32 v3, 1, v8
	v_or_b32_e32 v3, v9, v3
	v_cvt_f32_u32_e32 v3, v3
	v_ldexp_f32 v1, v3, v1
	s_branch .LBB18_1490
.LBB18_1488:
	s_mov_b64 s[0:1], -1
                                        ; implicit-def: $vgpr1
.LBB18_1489:
	s_mov_b64 s[16:17], 0
.LBB18_1490:
	s_and_b64 vcc, exec, s[16:17]
	s_cbranch_vccz .LBB18_1508
; %bb.1491:
	s_cmp_lt_i32 s22, 27
	s_cbranch_scc1 .LBB18_1494
; %bb.1492:
	s_cmp_gt_i32 s22, 27
	s_cbranch_scc0 .LBB18_1495
; %bb.1493:
	global_load_dword v1, v[5:6], off
	s_mov_b64 s[12:13], 0
	s_waitcnt vmcnt(0)
	v_cvt_f32_u32_e32 v1, v1
	s_branch .LBB18_1496
.LBB18_1494:
	s_mov_b64 s[12:13], -1
                                        ; implicit-def: $vgpr1
	s_branch .LBB18_1499
.LBB18_1495:
	s_mov_b64 s[12:13], -1
                                        ; implicit-def: $vgpr1
.LBB18_1496:
	s_andn2_b64 vcc, exec, s[12:13]
	s_cbranch_vccnz .LBB18_1498
; %bb.1497:
	global_load_ushort v1, v[5:6], off
	s_waitcnt vmcnt(0)
	v_cvt_f32_u32_e32 v1, v1
.LBB18_1498:
	s_mov_b64 s[12:13], 0
.LBB18_1499:
	s_andn2_b64 vcc, exec, s[12:13]
	s_cbranch_vccnz .LBB18_1507
; %bb.1500:
	global_load_ubyte v3, v[5:6], off
	s_movk_i32 s3, 0x7f
	s_mov_b64 s[12:13], 0
	s_waitcnt vmcnt(0)
	v_cmp_lt_i16_e32 vcc, s3, v3
	s_and_saveexec_b64 s[16:17], vcc
	s_xor_b64 s[16:17], exec, s[16:17]
	s_cbranch_execz .LBB18_1521
; %bb.1501:
	s_movk_i32 s3, 0x80
	v_cmp_eq_u16_e32 vcc, s3, v3
	s_mov_b64 s[12:13], -1
	s_and_saveexec_b64 s[18:19], vcc
; %bb.1502:
	s_xor_b64 s[12:13], exec, -1
; %bb.1503:
	s_or_b64 exec, exec, s[18:19]
	s_and_b64 s[12:13], s[12:13], exec
	s_or_saveexec_b64 s[16:17], s[16:17]
	v_mov_b32_e32 v1, 0x7f800001
	s_xor_b64 exec, exec, s[16:17]
	s_cbranch_execnz .LBB18_1522
.LBB18_1504:
	s_or_b64 exec, exec, s[16:17]
	s_and_saveexec_b64 s[16:17], s[12:13]
	s_cbranch_execz .LBB18_1506
.LBB18_1505:
	v_lshlrev_b32_e32 v1, 24, v3
	v_and_b32_e32 v3, 0xffff, v3
	v_and_b32_e32 v8, 7, v3
	v_ffbh_u32_e32 v10, v8
	v_min_u32_e32 v10, 32, v10
	v_subrev_u32_e32 v11, 28, v10
	v_bfe_u32 v9, v3, 3, 4
	v_lshlrev_b32_e32 v3, v11, v3
	v_sub_u32_e32 v10, 29, v10
	v_and_b32_e32 v3, 7, v3
	v_cmp_eq_u32_e32 vcc, 0, v9
	v_cndmask_b32_e32 v9, v9, v10, vcc
	v_cndmask_b32_e32 v3, v8, v3, vcc
	v_mov_b32_e32 v8, 0x3b800000
	v_lshlrev_b32_e32 v3, 20, v3
	v_and_b32_e32 v1, 0x80000000, v1
	v_lshl_add_u32 v8, v9, 23, v8
	v_or3_b32 v1, v1, v8, v3
.LBB18_1506:
	s_or_b64 exec, exec, s[16:17]
.LBB18_1507:
	s_mov_b64 s[12:13], -1
.LBB18_1508:
	s_mov_b64 s[16:17], 0
.LBB18_1509:
	s_and_b64 vcc, exec, s[16:17]
	s_cbranch_vccz .LBB18_1542
; %bb.1510:
	s_cmp_gt_i32 s22, 22
	s_cbranch_scc0 .LBB18_1520
; %bb.1511:
	s_cmp_lt_i32 s22, 24
	s_cbranch_scc1 .LBB18_1523
; %bb.1512:
	s_cmp_gt_i32 s22, 24
	s_cbranch_scc0 .LBB18_1524
; %bb.1513:
	global_load_ubyte v3, v[5:6], off
	s_movk_i32 s3, 0x7f
	s_waitcnt vmcnt(0)
	v_cmp_lt_i16_e32 vcc, s3, v3
	s_and_saveexec_b64 s[12:13], vcc
	s_xor_b64 s[12:13], exec, s[12:13]
	s_cbranch_execz .LBB18_1536
; %bb.1514:
	s_movk_i32 s3, 0x80
	v_cmp_eq_u16_e32 vcc, s3, v3
	s_mov_b64 s[10:11], -1
	s_and_saveexec_b64 s[16:17], vcc
; %bb.1515:
	s_xor_b64 s[10:11], exec, -1
; %bb.1516:
	s_or_b64 exec, exec, s[16:17]
	s_and_b64 s[10:11], s[10:11], exec
	s_or_saveexec_b64 s[12:13], s[12:13]
	v_mov_b32_e32 v1, 0x7f800001
	s_xor_b64 exec, exec, s[12:13]
	s_cbranch_execnz .LBB18_1537
.LBB18_1517:
	s_or_b64 exec, exec, s[12:13]
	s_and_saveexec_b64 s[12:13], s[10:11]
	s_cbranch_execz .LBB18_1519
.LBB18_1518:
	v_lshlrev_b32_e32 v1, 24, v3
	v_and_b32_e32 v3, 0xffff, v3
	v_and_b32_e32 v8, 3, v3
	v_ffbh_u32_e32 v10, v8
	v_min_u32_e32 v10, 32, v10
	v_subrev_u32_e32 v11, 29, v10
	v_bfe_u32 v9, v3, 2, 5
	v_lshlrev_b32_e32 v3, v11, v3
	v_sub_u32_e32 v10, 30, v10
	v_and_b32_e32 v3, 3, v3
	v_cmp_eq_u32_e32 vcc, 0, v9
	v_cndmask_b32_e32 v9, v9, v10, vcc
	v_cndmask_b32_e32 v3, v8, v3, vcc
	v_mov_b32_e32 v8, 0x37800000
	v_lshlrev_b32_e32 v3, 21, v3
	v_and_b32_e32 v1, 0x80000000, v1
	v_lshl_add_u32 v8, v9, 23, v8
	v_or3_b32 v1, v1, v8, v3
.LBB18_1519:
	s_or_b64 exec, exec, s[12:13]
	s_mov_b64 s[10:11], 0
	s_branch .LBB18_1525
.LBB18_1520:
	s_mov_b64 s[10:11], -1
                                        ; implicit-def: $vgpr1
	s_branch .LBB18_1531
.LBB18_1521:
	s_or_saveexec_b64 s[16:17], s[16:17]
	v_mov_b32_e32 v1, 0x7f800001
	s_xor_b64 exec, exec, s[16:17]
	s_cbranch_execz .LBB18_1504
.LBB18_1522:
	v_cmp_ne_u16_e32 vcc, 0, v3
	s_andn2_b64 s[12:13], s[12:13], exec
	s_and_b64 s[18:19], vcc, exec
	v_mov_b32_e32 v1, 0
	s_or_b64 s[12:13], s[12:13], s[18:19]
	s_or_b64 exec, exec, s[16:17]
	s_and_saveexec_b64 s[16:17], s[12:13]
	s_cbranch_execnz .LBB18_1505
	s_branch .LBB18_1506
.LBB18_1523:
	s_mov_b64 s[10:11], -1
                                        ; implicit-def: $vgpr1
	s_branch .LBB18_1528
.LBB18_1524:
	s_mov_b64 s[10:11], -1
                                        ; implicit-def: $vgpr1
.LBB18_1525:
	s_and_b64 vcc, exec, s[10:11]
	s_cbranch_vccz .LBB18_1527
; %bb.1526:
	global_load_ubyte v1, v[5:6], off
	s_mov_b32 s3, 0x7f800000
	s_waitcnt vmcnt(0)
	v_lshlrev_b32_e32 v1, 24, v1
	v_and_b32_e32 v3, 0x7f000000, v1
	v_ffbh_u32_e32 v8, v3
	v_min_u32_e32 v8, 32, v8
	v_sub_u32_e64 v8, v8, 4 clamp
	v_lshlrev_b32_e32 v10, v8, v3
	v_lshlrev_b32_e32 v8, 23, v8
	v_lshrrev_b32_e32 v10, 4, v10
	v_add_u32_e32 v9, 0x1000000, v3
	v_sub_u32_e32 v8, v10, v8
	v_ashrrev_i32_e32 v9, 8, v9
	v_add_u32_e32 v8, 0x3c000000, v8
	v_and_or_b32 v8, v9, s3, v8
	v_cmp_ne_u32_e32 vcc, 0, v3
	v_cndmask_b32_e32 v3, 0, v8, vcc
	s_brev_b32 s3, 1
	v_and_or_b32 v1, v1, s3, v3
.LBB18_1527:
	s_mov_b64 s[10:11], 0
.LBB18_1528:
	s_andn2_b64 vcc, exec, s[10:11]
	s_cbranch_vccnz .LBB18_1530
; %bb.1529:
	global_load_ubyte v1, v[5:6], off
	s_movk_i32 s3, 0x7f00
	s_brev_b32 s10, 16
	s_waitcnt vmcnt(0)
	v_lshlrev_b16_e32 v3, 8, v1
	v_lshlrev_b32_e32 v1, 25, v1
	v_lshrrev_b32_e32 v8, 4, v1
	v_and_or_b32 v9, v3, s3, 0.5
	v_or_b32_e32 v8, 0x70000000, v8
	v_add_f32_e32 v9, -0.5, v9
	v_mul_f32_e32 v8, 0x7800000, v8
	v_cmp_gt_u32_e32 vcc, s10, v1
	v_bfe_i32 v3, v3, 0, 16
	v_cndmask_b32_e32 v1, v8, v9, vcc
	s_brev_b32 s3, 1
	v_and_or_b32 v1, v3, s3, v1
.LBB18_1530:
	s_mov_b64 s[10:11], 0
	s_mov_b64 s[12:13], -1
.LBB18_1531:
	s_andn2_b64 vcc, exec, s[10:11]
	s_mov_b64 s[10:11], 0
	s_cbranch_vccnz .LBB18_1542
; %bb.1532:
	s_cmp_gt_i32 s22, 14
	s_cbranch_scc0 .LBB18_1535
; %bb.1533:
	s_cmp_eq_u32 s22, 15
	s_cbranch_scc0 .LBB18_1538
; %bb.1534:
	global_load_ushort v1, v[5:6], off
	s_mov_b64 s[0:1], 0
	s_mov_b64 s[12:13], -1
	s_waitcnt vmcnt(0)
	v_lshlrev_b32_e32 v1, 16, v1
	s_branch .LBB18_1539
.LBB18_1535:
	s_mov_b64 s[16:17], -1
                                        ; implicit-def: $vgpr1
	s_branch .LBB18_1540
.LBB18_1536:
	s_or_saveexec_b64 s[12:13], s[12:13]
	v_mov_b32_e32 v1, 0x7f800001
	s_xor_b64 exec, exec, s[12:13]
	s_cbranch_execz .LBB18_1517
.LBB18_1537:
	v_cmp_ne_u16_e32 vcc, 0, v3
	s_andn2_b64 s[10:11], s[10:11], exec
	s_and_b64 s[16:17], vcc, exec
	v_mov_b32_e32 v1, 0
	s_or_b64 s[10:11], s[10:11], s[16:17]
	s_or_b64 exec, exec, s[12:13]
	s_and_saveexec_b64 s[12:13], s[10:11]
	s_cbranch_execnz .LBB18_1518
	s_branch .LBB18_1519
.LBB18_1538:
	s_mov_b64 s[0:1], -1
                                        ; implicit-def: $vgpr1
.LBB18_1539:
	s_mov_b64 s[16:17], 0
.LBB18_1540:
	s_and_b64 vcc, exec, s[16:17]
	s_cbranch_vccz .LBB18_1542
; %bb.1541:
	s_cmp_lg_u32 s22, 11
	s_mov_b64 s[10:11], -1
	s_cselect_b64 s[0:1], -1, 0
.LBB18_1542:
	s_and_b64 vcc, exec, s[0:1]
	s_cbranch_vccnz .LBB18_2085
; %bb.1543:
	s_andn2_b64 vcc, exec, s[10:11]
	s_cbranch_vccnz .LBB18_1545
.LBB18_1544:
	global_load_ubyte v1, v[5:6], off
	s_mov_b64 s[12:13], -1
	s_waitcnt vmcnt(0)
	v_cmp_ne_u16_e32 vcc, 0, v1
	v_cndmask_b32_e64 v1, 0, 1.0, vcc
.LBB18_1545:
	s_mov_b64 s[0:1], 0
.LBB18_1546:
	s_and_b64 vcc, exec, s[0:1]
	s_cbranch_vccz .LBB18_1595
; %bb.1547:
	s_cmp_lt_i32 s22, 5
	s_cbranch_scc1 .LBB18_1552
; %bb.1548:
	s_cmp_lt_i32 s22, 8
	s_cbranch_scc1 .LBB18_1553
	;; [unrolled: 3-line block ×3, first 2 shown]
; %bb.1550:
	s_cmp_gt_i32 s22, 9
	s_cbranch_scc0 .LBB18_1555
; %bb.1551:
	global_load_dwordx2 v[8:9], v[5:6], off
	s_mov_b64 s[0:1], 0
	s_waitcnt vmcnt(0)
	v_cvt_f32_f64_e32 v1, v[8:9]
	s_branch .LBB18_1556
.LBB18_1552:
	s_mov_b64 s[0:1], -1
                                        ; implicit-def: $vgpr1
	s_branch .LBB18_1574
.LBB18_1553:
	s_mov_b64 s[0:1], -1
                                        ; implicit-def: $vgpr1
	s_branch .LBB18_1562
.LBB18_1554:
	s_mov_b64 s[0:1], -1
                                        ; implicit-def: $vgpr1
	s_branch .LBB18_1559
.LBB18_1555:
	s_mov_b64 s[0:1], -1
                                        ; implicit-def: $vgpr1
.LBB18_1556:
	s_andn2_b64 vcc, exec, s[0:1]
	s_cbranch_vccnz .LBB18_1558
; %bb.1557:
	global_load_dword v1, v[5:6], off
.LBB18_1558:
	s_mov_b64 s[0:1], 0
.LBB18_1559:
	s_andn2_b64 vcc, exec, s[0:1]
	s_cbranch_vccnz .LBB18_1561
; %bb.1560:
	global_load_dword v1, v[5:6], off
	s_waitcnt vmcnt(0)
	v_cvt_f32_f16_e32 v1, v1
.LBB18_1561:
	s_mov_b64 s[0:1], 0
.LBB18_1562:
	s_andn2_b64 vcc, exec, s[0:1]
	s_cbranch_vccnz .LBB18_1573
; %bb.1563:
	s_cmp_lt_i32 s22, 6
	s_cbranch_scc1 .LBB18_1566
; %bb.1564:
	s_cmp_gt_i32 s22, 6
	s_cbranch_scc0 .LBB18_1567
; %bb.1565:
	global_load_dwordx2 v[8:9], v[5:6], off
	s_mov_b64 s[0:1], 0
	s_waitcnt vmcnt(0)
	v_cvt_f32_f64_e32 v1, v[8:9]
	s_branch .LBB18_1568
.LBB18_1566:
	s_mov_b64 s[0:1], -1
                                        ; implicit-def: $vgpr1
	s_branch .LBB18_1571
.LBB18_1567:
	s_mov_b64 s[0:1], -1
                                        ; implicit-def: $vgpr1
.LBB18_1568:
	s_andn2_b64 vcc, exec, s[0:1]
	s_cbranch_vccnz .LBB18_1570
; %bb.1569:
	global_load_dword v1, v[5:6], off
.LBB18_1570:
	s_mov_b64 s[0:1], 0
.LBB18_1571:
	s_andn2_b64 vcc, exec, s[0:1]
	s_cbranch_vccnz .LBB18_1573
; %bb.1572:
	global_load_ushort v1, v[5:6], off
	s_waitcnt vmcnt(0)
	v_cvt_f32_f16_e32 v1, v1
.LBB18_1573:
	s_mov_b64 s[0:1], 0
.LBB18_1574:
	s_andn2_b64 vcc, exec, s[0:1]
	s_cbranch_vccnz .LBB18_1594
; %bb.1575:
	s_cmp_lt_i32 s22, 2
	s_cbranch_scc1 .LBB18_1579
; %bb.1576:
	s_cmp_lt_i32 s22, 3
	s_cbranch_scc1 .LBB18_1580
; %bb.1577:
	s_cmp_gt_i32 s22, 3
	s_cbranch_scc0 .LBB18_1581
; %bb.1578:
	global_load_dwordx2 v[8:9], v[5:6], off
	s_mov_b64 s[0:1], 0
	s_waitcnt vmcnt(0)
	v_xor_b32_e32 v3, v8, v9
	v_ffbh_i32_e32 v1, v9
	v_ashrrev_i32_e32 v3, 31, v3
	v_add_u32_e32 v1, -1, v1
	v_add_u32_e32 v3, 32, v3
	v_min_u32_e32 v1, v1, v3
	v_lshlrev_b64 v[8:9], v1, v[8:9]
	v_sub_u32_e32 v1, 32, v1
	v_min_u32_e32 v3, 1, v8
	v_or_b32_e32 v3, v9, v3
	v_cvt_f32_i32_e32 v3, v3
	v_ldexp_f32 v1, v3, v1
	s_branch .LBB18_1582
.LBB18_1579:
	s_mov_b64 s[0:1], -1
                                        ; implicit-def: $vgpr1
	s_branch .LBB18_1588
.LBB18_1580:
	s_mov_b64 s[0:1], -1
                                        ; implicit-def: $vgpr1
	s_branch .LBB18_1585
.LBB18_1581:
	s_mov_b64 s[0:1], -1
                                        ; implicit-def: $vgpr1
.LBB18_1582:
	s_andn2_b64 vcc, exec, s[0:1]
	s_cbranch_vccnz .LBB18_1584
; %bb.1583:
	global_load_dword v1, v[5:6], off
	s_waitcnt vmcnt(0)
	v_cvt_f32_i32_e32 v1, v1
.LBB18_1584:
	s_mov_b64 s[0:1], 0
.LBB18_1585:
	s_andn2_b64 vcc, exec, s[0:1]
	s_cbranch_vccnz .LBB18_1587
; %bb.1586:
	global_load_sshort v1, v[5:6], off
	s_waitcnt vmcnt(0)
	v_cvt_f32_i32_e32 v1, v1
.LBB18_1587:
	s_mov_b64 s[0:1], 0
.LBB18_1588:
	s_andn2_b64 vcc, exec, s[0:1]
	s_cbranch_vccnz .LBB18_1594
; %bb.1589:
	s_cmp_gt_i32 s22, 0
	s_cbranch_scc0 .LBB18_1591
; %bb.1590:
	global_load_sbyte v1, v[5:6], off
	s_mov_b64 s[0:1], 0
	s_waitcnt vmcnt(0)
	v_cvt_f32_i32_e32 v1, v1
	s_branch .LBB18_1592
.LBB18_1591:
	s_mov_b64 s[0:1], -1
                                        ; implicit-def: $vgpr1
.LBB18_1592:
	s_andn2_b64 vcc, exec, s[0:1]
	s_cbranch_vccnz .LBB18_1594
; %bb.1593:
	global_load_ubyte v1, v[5:6], off
	s_waitcnt vmcnt(0)
	v_cvt_f32_ubyte0_e32 v1, v1
.LBB18_1594:
	s_mov_b64 s[12:13], -1
.LBB18_1595:
	s_andn2_b64 vcc, exec, s[12:13]
	s_cbranch_vccnz .LBB18_1682
; %bb.1596:
	s_waitcnt vmcnt(0)
	v_cmp_neq_f32_e32 vcc, 0, v1
	v_mov_b32_e32 v6, 0x7f800000
	s_and_saveexec_b64 s[10:11], vcc
	s_cbranch_execz .LBB18_1604
; %bb.1597:
	v_cmp_ngt_f32_e32 vcc, 0, v1
	v_mov_b32_e32 v6, 0x7fc00000
	s_and_saveexec_b64 s[12:13], vcc
	s_cbranch_execz .LBB18_1603
; %bb.1598:
	v_cmp_ge_f32_e32 vcc, 2.0, v1
                                        ; implicit-def: $vgpr6
	s_and_saveexec_b64 s[0:1], vcc
	s_xor_b64 s[16:17], exec, s[0:1]
	s_cbranch_execz .LBB18_1600
; %bb.1599:
	v_fma_f32 v3, v1, v1, -2.0
	v_mov_b32_e32 v5, 0x293fd856
	v_fmac_f32_e32 v5, 0x251e770f, v3
	v_mov_b32_e32 v6, 0xa51e770f
	v_fmac_f32_e32 v6, v3, v5
	v_add_f32_e32 v6, 0x2d3612e2, v6
	v_fma_f32 v5, v3, v6, -v5
	v_add_f32_e32 v5, 0x3102e09b, v5
	v_fma_f32 v6, v3, v5, -v6
	v_add_f32_e32 v6, 0x348815e7, v6
	v_fma_f32 v5, v3, v6, -v5
	v_add_f32_e32 v5, 0x37bfc808, v5
	v_fma_f32 v6, v3, v5, -v6
	v_add_f32_e32 v6, 0x3aa5c174, v6
	v_fma_f32 v5, v3, v6, -v5
	v_add_f32_e32 v5, 0x3d135fb3, v5
	v_fma_f32 v6, v3, v5, -v6
	v_add_f32_e32 v6, 0x3eb046c4, v6
	v_fma_f32 v3, v3, v6, -v5
	v_mul_f32_e32 v6, 0.5, v1
	s_mov_b32 s0, 0x800000
	v_cmp_gt_f32_e32 vcc, s0, v6
	v_cndmask_b32_e64 v8, 0, 32, vcc
	v_ldexp_f32 v6, v6, v8
	v_log_f32_e32 v6, v6
	v_add_f32_e32 v3, 0xbf090b37, v3
	v_sub_f32_e32 v3, v3, v5
	s_mov_b32 s0, 0x3f317217
	v_mul_f32_e32 v5, 0x3f317217, v6
	v_fma_f32 v5, v6, s0, -v5
	v_fmac_f32_e32 v5, 0x3377d1cf, v6
	s_mov_b32 s0, 0x7f800000
	v_fmac_f32_e32 v5, 0x3f317217, v6
	v_cmp_lt_f32_e64 s[0:1], |v6|, s0
	v_cndmask_b32_e64 v5, v6, v5, s[0:1]
	v_mul_f32_e32 v6, 0x3fb8aa3b, v1
	s_mov_b32 s0, 0x3fb8aa3b
	v_rndne_f32_e32 v8, v6
	v_sub_f32_e32 v9, v6, v8
	v_fma_f32 v6, v1, s0, -v6
	v_fmac_f32_e32 v6, 0x32a5705f, v1
	v_add_f32_e32 v6, v9, v6
	v_exp_f32_e32 v6, v6
	v_cvt_i32_f32_e32 v8, v8
	v_mov_b32_e32 v9, 0x41b17218
	s_mov_b32 s0, 0xc2ce8ed0
	v_cndmask_b32_e32 v9, 0, v9, vcc
	v_ldexp_f32 v6, v6, v8
	v_cmp_ngt_f32_e32 vcc, s0, v1
	s_mov_b32 s0, 0x42b17218
	v_cndmask_b32_e32 v6, 0, v6, vcc
	v_mov_b32_e32 v8, 0x7f800000
	v_cmp_nlt_f32_e32 vcc, s0, v1
	v_cndmask_b32_e32 v6, v8, v6, vcc
	v_fma_f32 v1, v1, 0.5, -2.0
	v_mov_b32_e32 v8, 0x24199b15
	v_sub_f32_e32 v5, v5, v9
	v_fmac_f32_e32 v8, 0xa2a2e5b9, v1
	v_mov_b32_e32 v9, 0x22a2e5b9
	v_fmac_f32_e32 v9, v1, v8
	v_add_f32_e32 v9, 0xa58c275c, v9
	v_fma_f32 v8, v1, v9, -v8
	v_add_f32_e32 v8, 0x26f736c5, v8
	v_fma_f32 v9, v1, v8, -v9
	;; [unrolled: 2-line block ×27, first 2 shown]
	v_add_f32_e32 v1, 0x3f2d4275, v1
	v_sub_f32_e32 v1, v1, v8
	v_mul_f32_e32 v1, 0.5, v1
	v_mul_f32_e32 v1, v6, v1
	v_mul_f32_e32 v1, v5, v1
	v_fma_f32 v1, v3, 0.5, -v1
	v_mul_f32_e32 v6, v6, v1
                                        ; implicit-def: $vgpr1
.LBB18_1600:
	s_andn2_saveexec_b64 s[16:17], s[16:17]
	s_cbranch_execz .LBB18_1602
; %bb.1601:
	s_mov_b32 s3, 0x41000000
	v_div_scale_f32 v3, s[0:1], v1, v1, s3
	v_div_scale_f32 v5, vcc, s3, v1, s3
	s_mov_b32 s0, 0xf800000
	v_mul_f32_e32 v6, 0x4f800000, v1
	v_cmp_gt_f32_e64 s[0:1], s0, v1
	v_cndmask_b32_e64 v6, v1, v6, s[0:1]
	v_sqrt_f32_e32 v9, v6
	v_add_u32_e32 v12, 1, v9
	v_fma_f32 v14, -v12, v9, v6
	v_rcp_f32_e32 v8, v3
	v_fma_f32 v10, -v3, v8, 1.0
	v_fmac_f32_e32 v8, v10, v8
	v_mul_f32_e32 v10, v5, v8
	v_fma_f32 v11, -v3, v10, v5
	v_fmac_f32_e32 v10, v11, v8
	v_fma_f32 v3, -v3, v10, v5
	v_div_fmas_f32 v3, v3, v8, v10
	v_mov_b32_e32 v5, 0xa397f665
	v_mov_b32_e32 v8, 0xa2c38d2e
	v_add_u32_e32 v11, -1, v9
	v_fma_f32 v13, -v11, v9, v6
	v_cmp_ge_f32_e32 vcc, 0, v13
	v_cndmask_b32_e32 v9, v9, v11, vcc
	v_cmp_lt_f32_e32 vcc, 0, v14
	v_cndmask_b32_e32 v9, v9, v12, vcc
	v_mov_b32_e32 v10, 0x260
	v_mul_f32_e32 v11, 0x37800000, v9
	v_cndmask_b32_e64 v9, v9, v11, s[0:1]
	v_cmp_class_f32_e32 vcc, v6, v10
	v_cndmask_b32_e32 v6, v9, v6, vcc
	v_div_fixup_f32 v1, v3, v1, s3
	v_add_f32_e32 v1, -2.0, v1
	v_fmac_f32_e32 v5, 0x22c38d2e, v1
	v_fmac_f32_e32 v8, v1, v5
	v_add_f32_e32 v3, 0x24704972, v8
	v_fma_f32 v5, v1, v3, -v5
	v_add_f32_e32 v5, 0xa5417ca4, v5
	v_fma_f32 v3, v1, v5, -v3
	;; [unrolled: 2-line block ×22, first 2 shown]
	v_add_f32_e32 v1, 0x401c2ded, v1
	v_sub_f32_e32 v1, v1, v3
	v_mul_f32_e32 v1, 0.5, v1
	v_div_scale_f32 v3, s[0:1], v6, v6, v1
	v_div_scale_f32 v5, vcc, v1, v6, v1
	v_rcp_f32_e32 v8, v3
	v_fma_f32 v9, -v3, v8, 1.0
	v_fmac_f32_e32 v8, v9, v8
	v_mul_f32_e32 v9, v5, v8
	v_fma_f32 v10, -v3, v9, v5
	v_fmac_f32_e32 v9, v10, v8
	v_fma_f32 v3, -v3, v9, v5
	v_div_fmas_f32 v3, v3, v8, v9
	v_div_fixup_f32 v6, v3, v6, v1
.LBB18_1602:
	s_or_b64 exec, exec, s[16:17]
.LBB18_1603:
	s_or_b64 exec, exec, s[12:13]
.LBB18_1604:
	s_or_b64 exec, exec, s[10:11]
	v_mul_lo_u32 v3, s2, v7
	v_mov_b32_e32 v1, s9
	s_and_b32 s20, s33, 0xff
	s_cmp_lt_i32 s20, 11
	v_ashrrev_i32_e32 v5, 31, v3
	v_add_co_u32_e32 v7, vcc, s8, v3
	v_addc_co_u32_e32 v8, vcc, v1, v5, vcc
	s_cbranch_scc1 .LBB18_1728
; %bb.1605:
	s_and_b32 s3, 0xffff, s20
	s_mov_b64 s[16:17], -1
	s_mov_b64 s[10:11], 0
	s_cmp_gt_i32 s3, 25
	s_mov_b64 s[12:13], 0
	s_mov_b64 s[0:1], 0
	s_cbranch_scc0 .LBB18_1638
; %bb.1606:
	s_cmp_gt_i32 s3, 28
	s_cbranch_scc0 .LBB18_1621
; %bb.1607:
	s_cmp_gt_i32 s3, 43
	;; [unrolled: 3-line block ×3, first 2 shown]
	s_cbranch_scc0 .LBB18_1611
; %bb.1609:
	s_mov_b64 s[0:1], -1
	s_mov_b64 s[16:17], 0
	s_cmp_eq_u32 s3, 46
	s_cbranch_scc0 .LBB18_1611
; %bb.1610:
	v_bfe_u32 v1, v0, 16, 1
	s_movk_i32 s0, 0x7fff
	v_add3_u32 v1, v0, v1, s0
	v_cmp_o_f32_e32 vcc, v0, v0
	v_mov_b32_e32 v5, 0x7fc0
	v_cndmask_b32_sdwa v1, v5, v1, vcc dst_sel:DWORD dst_unused:UNUSED_PAD src0_sel:DWORD src1_sel:WORD_1
	global_store_dword v[7:8], v1, off
	s_mov_b64 s[0:1], 0
	s_mov_b64 s[12:13], -1
.LBB18_1611:
	s_and_b64 vcc, exec, s[16:17]
	s_cbranch_vccz .LBB18_1616
; %bb.1612:
	s_cmp_eq_u32 s3, 44
	s_mov_b64 s[0:1], -1
	s_cbranch_scc0 .LBB18_1616
; %bb.1613:
	v_bfe_u32 v1, v0, 23, 8
	s_movk_i32 s0, 0xff
	v_cmp_ne_u32_e32 vcc, s0, v1
	v_mov_b32_e32 v5, 0xff
	s_and_saveexec_b64 s[12:13], vcc
; %bb.1614:
	s_mov_b32 s0, 0x3fffff
	v_and_b32_e32 v9, 0x400000, v0
	v_and_or_b32 v1, v0, s0, v1
	v_cmp_ne_u32_e32 vcc, 0, v9
	v_cmp_ne_u32_e64 s[0:1], 0, v1
	s_and_b64 s[0:1], vcc, s[0:1]
	v_lshrrev_b32_e32 v5, 23, v0
	v_cndmask_b32_e64 v1, 0, 1, s[0:1]
	v_add_u32_e32 v5, v5, v1
; %bb.1615:
	s_or_b64 exec, exec, s[12:13]
	s_mov_b64 s[0:1], 0
	s_mov_b64 s[12:13], -1
	global_store_byte v[7:8], v5, off
.LBB18_1616:
	s_mov_b64 s[16:17], 0
.LBB18_1617:
	s_and_b64 vcc, exec, s[16:17]
	s_cbranch_vccz .LBB18_1620
; %bb.1618:
	s_cmp_eq_u32 s3, 29
	s_mov_b64 s[0:1], -1
	s_cbranch_scc0 .LBB18_1620
; %bb.1619:
	v_trunc_f32_e32 v1, v0
	v_mul_f32_e32 v5, 0x2f800000, v1
	v_floor_f32_e32 v5, v5
	v_fmac_f32_e32 v1, 0xcf800000, v5
	v_cvt_u32_f32_e32 v10, v5
	v_cvt_u32_f32_e32 v9, v1
	s_mov_b64 s[0:1], 0
	s_mov_b64 s[12:13], -1
	global_store_dwordx2 v[7:8], v[9:10], off
.LBB18_1620:
	s_mov_b64 s[16:17], 0
.LBB18_1621:
	s_and_b64 vcc, exec, s[16:17]
	s_cbranch_vccz .LBB18_1637
; %bb.1622:
	s_cmp_lt_i32 s3, 27
	s_mov_b64 s[12:13], -1
	s_cbranch_scc1 .LBB18_1628
; %bb.1623:
	v_cvt_u32_f32_e32 v1, v0
	s_cmp_gt_i32 s3, 27
	s_cbranch_scc0 .LBB18_1625
; %bb.1624:
	s_mov_b64 s[12:13], 0
	global_store_dword v[7:8], v1, off
.LBB18_1625:
	s_andn2_b64 vcc, exec, s[12:13]
	s_cbranch_vccnz .LBB18_1627
; %bb.1626:
	global_store_short v[7:8], v1, off
.LBB18_1627:
	s_mov_b64 s[12:13], 0
.LBB18_1628:
	s_andn2_b64 vcc, exec, s[12:13]
	s_cbranch_vccnz .LBB18_1636
; %bb.1629:
	v_and_b32_e32 v1, 0x7fffffff, v0
	s_mov_b32 s12, 0x43800000
	v_cmp_gt_u32_e32 vcc, s12, v1
	v_mov_b32_e32 v5, 0x80
	s_and_saveexec_b64 s[12:13], vcc
	s_cbranch_execz .LBB18_1635
; %bb.1630:
	s_mov_b32 s16, 0x3bffffff
	v_cmp_lt_u32_e32 vcc, s16, v1
	s_mov_b64 s[16:17], 0
                                        ; implicit-def: $vgpr1
	s_and_saveexec_b64 s[18:19], vcc
	s_xor_b64 s[18:19], exec, s[18:19]
	s_cbranch_execz .LBB18_2086
; %bb.1631:
	v_bfe_u32 v1, v0, 20, 1
	s_mov_b32 s21, 0x487ffff
	v_add3_u32 v1, v0, v1, s21
	s_mov_b64 s[16:17], exec
	v_lshrrev_b32_e32 v1, 20, v1
	s_andn2_saveexec_b64 s[18:19], s[18:19]
	s_cbranch_execnz .LBB18_2087
.LBB18_1632:
	s_or_b64 exec, exec, s[18:19]
	v_mov_b32_e32 v5, 0
	s_and_saveexec_b64 s[18:19], s[16:17]
.LBB18_1633:
	v_lshrrev_b32_e32 v5, 24, v0
	s_movk_i32 s16, 0x80
	v_and_or_b32 v5, v5, s16, v1
.LBB18_1634:
	s_or_b64 exec, exec, s[18:19]
.LBB18_1635:
	s_or_b64 exec, exec, s[12:13]
	global_store_byte v[7:8], v5, off
.LBB18_1636:
	s_mov_b64 s[12:13], -1
.LBB18_1637:
	s_mov_b64 s[16:17], 0
.LBB18_1638:
	s_and_b64 vcc, exec, s[16:17]
	s_cbranch_vccz .LBB18_1678
; %bb.1639:
	s_cmp_gt_i32 s3, 22
	s_mov_b64 s[10:11], -1
	s_cbranch_scc0 .LBB18_1671
; %bb.1640:
	s_cmp_lt_i32 s3, 24
	s_cbranch_scc1 .LBB18_1660
; %bb.1641:
	s_cmp_gt_i32 s3, 24
	s_cbranch_scc0 .LBB18_1649
; %bb.1642:
	v_and_b32_e32 v1, 0x7fffffff, v0
	s_mov_b32 s10, 0x47800000
	v_cmp_gt_u32_e32 vcc, s10, v1
	v_mov_b32_e32 v5, 0x80
	s_and_saveexec_b64 s[10:11], vcc
	s_cbranch_execz .LBB18_1648
; %bb.1643:
	s_mov_b32 s12, 0x37ffffff
	v_cmp_lt_u32_e32 vcc, s12, v1
	s_mov_b64 s[12:13], 0
                                        ; implicit-def: $vgpr1
	s_and_saveexec_b64 s[16:17], vcc
	s_xor_b64 s[16:17], exec, s[16:17]
	s_cbranch_execz .LBB18_2089
; %bb.1644:
	v_bfe_u32 v1, v0, 21, 1
	s_mov_b32 s18, 0x88fffff
	v_add3_u32 v1, v0, v1, s18
	s_mov_b64 s[12:13], exec
	v_lshrrev_b32_e32 v1, 21, v1
	s_andn2_saveexec_b64 s[16:17], s[16:17]
	s_cbranch_execnz .LBB18_2090
.LBB18_1645:
	s_or_b64 exec, exec, s[16:17]
	v_mov_b32_e32 v5, 0
	s_and_saveexec_b64 s[16:17], s[12:13]
.LBB18_1646:
	v_lshrrev_b32_e32 v5, 24, v0
	s_movk_i32 s12, 0x80
	v_and_or_b32 v5, v5, s12, v1
.LBB18_1647:
	s_or_b64 exec, exec, s[16:17]
.LBB18_1648:
	s_or_b64 exec, exec, s[10:11]
	s_mov_b64 s[10:11], 0
	global_store_byte v[7:8], v5, off
.LBB18_1649:
	s_and_b64 vcc, exec, s[10:11]
	s_cbranch_vccz .LBB18_1659
; %bb.1650:
	v_and_b32_e32 v5, 0x7fffffff, v0
	s_mov_b32 s10, 0x43f00000
	v_cmp_gt_u32_e32 vcc, s10, v5
                                        ; implicit-def: $vgpr1
	s_and_saveexec_b64 s[10:11], vcc
	s_xor_b64 s[10:11], exec, s[10:11]
	s_cbranch_execz .LBB18_1656
; %bb.1651:
	s_mov_b32 s12, 0x3c7fffff
	v_cmp_lt_u32_e32 vcc, s12, v5
                                        ; implicit-def: $vgpr1
	s_and_saveexec_b64 s[12:13], vcc
	s_xor_b64 s[12:13], exec, s[12:13]
; %bb.1652:
	v_bfe_u32 v1, v0, 20, 1
	s_mov_b32 s16, 0x407ffff
	v_add3_u32 v1, v0, v1, s16
	v_lshrrev_b32_e32 v5, 20, v1
	v_and_b32_e32 v1, 0xff00000, v1
	s_mov_b32 s16, 0x7f00000
	v_mov_b32_e32 v9, 0x7e
	v_cmp_ne_u32_e32 vcc, s16, v1
	v_cndmask_b32_e32 v1, v9, v5, vcc
; %bb.1653:
	s_andn2_saveexec_b64 s[12:13], s[12:13]
; %bb.1654:
	s_mov_b32 s16, 0x46800000
	v_add_f32_e64 v1, |v0|, s16
; %bb.1655:
	s_or_b64 exec, exec, s[12:13]
                                        ; implicit-def: $vgpr5
.LBB18_1656:
	s_andn2_saveexec_b64 s[10:11], s[10:11]
; %bb.1657:
	s_mov_b32 s12, 0x7f800000
	v_mov_b32_e32 v1, 0x7e
	v_mov_b32_e32 v9, 0x7f
	v_cmp_lt_u32_e32 vcc, s12, v5
	v_cndmask_b32_e32 v1, v1, v9, vcc
; %bb.1658:
	s_or_b64 exec, exec, s[10:11]
	v_lshrrev_b32_e32 v5, 24, v0
	s_movk_i32 s10, 0x80
	v_and_or_b32 v1, v5, s10, v1
	global_store_byte v[7:8], v1, off
.LBB18_1659:
	s_mov_b64 s[10:11], 0
.LBB18_1660:
	s_andn2_b64 vcc, exec, s[10:11]
	s_cbranch_vccnz .LBB18_1670
; %bb.1661:
	v_and_b32_e32 v5, 0x7fffffff, v0
	s_mov_b32 s10, 0x47800000
	v_cmp_gt_u32_e32 vcc, s10, v5
                                        ; implicit-def: $vgpr1
	s_and_saveexec_b64 s[10:11], vcc
	s_xor_b64 s[10:11], exec, s[10:11]
	s_cbranch_execz .LBB18_1667
; %bb.1662:
	s_mov_b32 s12, 0x387fffff
	v_cmp_lt_u32_e32 vcc, s12, v5
                                        ; implicit-def: $vgpr1
	s_and_saveexec_b64 s[12:13], vcc
	s_xor_b64 s[12:13], exec, s[12:13]
; %bb.1663:
	v_bfe_u32 v1, v0, 21, 1
	s_mov_b32 s16, 0x80fffff
	v_add3_u32 v1, v0, v1, s16
	v_lshrrev_b32_e32 v1, 21, v1
; %bb.1664:
	s_andn2_saveexec_b64 s[12:13], s[12:13]
; %bb.1665:
	s_mov_b32 s16, 0x43000000
	v_add_f32_e64 v1, |v0|, s16
; %bb.1666:
	s_or_b64 exec, exec, s[12:13]
                                        ; implicit-def: $vgpr5
.LBB18_1667:
	s_andn2_saveexec_b64 s[10:11], s[10:11]
; %bb.1668:
	s_mov_b32 s12, 0x7f800000
	v_mov_b32_e32 v1, 0x7c
	v_mov_b32_e32 v9, 0x7f
	v_cmp_lt_u32_e32 vcc, s12, v5
	v_cndmask_b32_e32 v1, v1, v9, vcc
; %bb.1669:
	s_or_b64 exec, exec, s[10:11]
	v_lshrrev_b32_e32 v5, 24, v0
	s_movk_i32 s10, 0x80
	v_and_or_b32 v1, v5, s10, v1
	global_store_byte v[7:8], v1, off
.LBB18_1670:
	s_mov_b64 s[10:11], 0
	s_mov_b64 s[12:13], -1
.LBB18_1671:
	s_andn2_b64 vcc, exec, s[10:11]
	s_mov_b64 s[10:11], 0
	s_cbranch_vccnz .LBB18_1678
; %bb.1672:
	s_cmp_gt_i32 s3, 14
	s_mov_b64 s[16:17], -1
	s_cbranch_scc0 .LBB18_1676
; %bb.1673:
	s_cmp_eq_u32 s3, 15
	s_mov_b64 s[0:1], -1
	s_cbranch_scc0 .LBB18_1675
; %bb.1674:
	v_bfe_u32 v1, v0, 16, 1
	s_movk_i32 s0, 0x7fff
	v_add3_u32 v1, v0, v1, s0
	v_cmp_o_f32_e32 vcc, v0, v0
	v_mov_b32_e32 v5, 0x7fc0
	v_cndmask_b32_sdwa v1, v5, v1, vcc dst_sel:DWORD dst_unused:UNUSED_PAD src0_sel:DWORD src1_sel:WORD_1
	global_store_short v[7:8], v1, off
	s_mov_b64 s[0:1], 0
	s_mov_b64 s[12:13], -1
.LBB18_1675:
	s_mov_b64 s[16:17], 0
.LBB18_1676:
	s_and_b64 vcc, exec, s[16:17]
	s_cbranch_vccz .LBB18_1678
; %bb.1677:
	s_cmp_lg_u32 s3, 11
	s_mov_b64 s[10:11], -1
	s_cselect_b64 s[0:1], -1, 0
.LBB18_1678:
	s_and_b64 vcc, exec, s[0:1]
	s_cbranch_vccnz .LBB18_2088
; %bb.1679:
	s_andn2_b64 vcc, exec, s[10:11]
	s_cbranch_vccnz .LBB18_1681
.LBB18_1680:
	v_cmp_neq_f32_e32 vcc, 0, v0
	v_cndmask_b32_e64 v1, 0, 1, vcc
	s_mov_b64 s[12:13], -1
	global_store_byte v[7:8], v1, off
.LBB18_1681:
	s_mov_b64 s[0:1], 0
	s_branch .LBB18_1729
.LBB18_1682:
	s_mov_b64 s[0:1], 0
                                        ; implicit-def: $sgpr20
                                        ; implicit-def: $vgpr0_vgpr1
                                        ; implicit-def: $vgpr6
.LBB18_1683:
	s_mov_b64 s[2:3], 0
.LBB18_1684:
	s_and_b64 s[12:13], s[2:3], exec
	s_andn2_b64 s[2:3], s[6:7], exec
	s_and_b64 s[6:7], s[14:15], exec
	s_and_b64 s[0:1], s[0:1], exec
	s_or_b64 s[6:7], s[2:3], s[6:7]
.LBB18_1685:
	s_or_b64 exec, exec, s[4:5]
	s_and_saveexec_b64 s[2:3], s[6:7]
	s_cbranch_execz .LBB18_1688
; %bb.1686:
	; divergent unreachable
	s_or_b64 exec, exec, s[2:3]
	s_and_saveexec_b64 s[2:3], s[12:13]
	s_xor_b64 s[2:3], exec, s[2:3]
	s_cbranch_execnz .LBB18_1689
.LBB18_1687:
	s_or_b64 exec, exec, s[2:3]
	s_and_saveexec_b64 s[2:3], s[0:1]
	s_cbranch_execnz .LBB18_1690
	s_branch .LBB18_1727
.LBB18_1688:
	s_or_b64 exec, exec, s[2:3]
	s_and_saveexec_b64 s[2:3], s[12:13]
	s_xor_b64 s[2:3], exec, s[2:3]
	s_cbranch_execz .LBB18_1687
.LBB18_1689:
	v_cmp_neq_f32_e32 vcc, 0, v6
	s_waitcnt vmcnt(0)
	v_cndmask_b32_e64 v2, 0, 1, vcc
	global_store_byte v[0:1], v2, off
	s_or_b64 exec, exec, s[2:3]
	s_and_saveexec_b64 s[2:3], s[0:1]
	s_cbranch_execz .LBB18_1727
.LBB18_1690:
	s_sext_i32_i16 s2, s20
	s_cmp_lt_i32 s2, 5
	s_mov_b64 s[0:1], -1
	s_cbranch_scc1 .LBB18_1711
; %bb.1691:
	s_cmp_lt_i32 s2, 8
	s_cbranch_scc1 .LBB18_1701
; %bb.1692:
	s_cmp_lt_i32 s2, 9
	s_cbranch_scc1 .LBB18_1698
; %bb.1693:
	s_cmp_gt_i32 s2, 9
	s_cbranch_scc0 .LBB18_1695
; %bb.1694:
	s_waitcnt vmcnt(0)
	v_cvt_f64_f32_e32 v[2:3], v6
	v_mov_b32_e32 v4, 0
	v_mov_b32_e32 v5, v4
	s_mov_b64 s[0:1], 0
	global_store_dwordx4 v[0:1], v[2:5], off
.LBB18_1695:
	s_andn2_b64 vcc, exec, s[0:1]
	s_cbranch_vccnz .LBB18_1697
; %bb.1696:
	v_mov_b32_e32 v7, 0
	s_waitcnt vmcnt(0)
	global_store_dwordx2 v[0:1], v[6:7], off
.LBB18_1697:
	s_mov_b64 s[0:1], 0
.LBB18_1698:
	s_andn2_b64 vcc, exec, s[0:1]
	s_cbranch_vccnz .LBB18_1700
; %bb.1699:
	s_waitcnt vmcnt(0)
	v_cvt_f16_f32_e32 v2, v6
	global_store_dword v[0:1], v2, off
.LBB18_1700:
	s_mov_b64 s[0:1], 0
.LBB18_1701:
	s_andn2_b64 vcc, exec, s[0:1]
	s_cbranch_vccnz .LBB18_1710
; %bb.1702:
	s_sext_i32_i16 s2, s20
	s_cmp_lt_i32 s2, 6
	s_mov_b64 s[0:1], -1
	s_cbranch_scc1 .LBB18_1708
; %bb.1703:
	s_cmp_gt_i32 s2, 6
	s_cbranch_scc0 .LBB18_1705
; %bb.1704:
	s_waitcnt vmcnt(0)
	v_cvt_f64_f32_e32 v[2:3], v6
	s_mov_b64 s[0:1], 0
	global_store_dwordx2 v[0:1], v[2:3], off
.LBB18_1705:
	s_andn2_b64 vcc, exec, s[0:1]
	s_cbranch_vccnz .LBB18_1707
; %bb.1706:
	s_waitcnt vmcnt(0)
	global_store_dword v[0:1], v6, off
.LBB18_1707:
	s_mov_b64 s[0:1], 0
.LBB18_1708:
	s_andn2_b64 vcc, exec, s[0:1]
	s_cbranch_vccnz .LBB18_1710
; %bb.1709:
	s_waitcnt vmcnt(0)
	v_cvt_f16_f32_e32 v2, v6
	global_store_short v[0:1], v2, off
.LBB18_1710:
	s_mov_b64 s[0:1], 0
.LBB18_1711:
	s_andn2_b64 vcc, exec, s[0:1]
	s_cbranch_vccnz .LBB18_1727
; %bb.1712:
	s_sext_i32_i16 s2, s20
	s_cmp_lt_i32 s2, 2
	s_mov_b64 s[0:1], -1
	s_cbranch_scc1 .LBB18_1722
; %bb.1713:
	s_cmp_lt_i32 s2, 3
	s_cbranch_scc1 .LBB18_1719
; %bb.1714:
	s_cmp_gt_i32 s2, 3
	s_cbranch_scc0 .LBB18_1716
; %bb.1715:
	s_waitcnt vmcnt(0)
	v_trunc_f32_e32 v2, v6
	s_mov_b32 s0, 0x2f800000
	v_mul_f32_e64 v3, |v2|, s0
	v_floor_f32_e32 v3, v3
	s_mov_b32 s0, 0xcf800000
	v_cvt_u32_f32_e32 v4, v3
	v_fma_f32 v3, v3, s0, |v2|
	v_cvt_u32_f32_e32 v3, v3
	v_ashrrev_i32_e32 v5, 31, v2
	v_xor_b32_e32 v4, v4, v5
	s_mov_b64 s[0:1], 0
	v_xor_b32_e32 v2, v3, v5
	v_sub_co_u32_e32 v2, vcc, v2, v5
	v_subb_co_u32_e32 v3, vcc, v4, v5, vcc
	global_store_dwordx2 v[0:1], v[2:3], off
.LBB18_1716:
	s_andn2_b64 vcc, exec, s[0:1]
	s_cbranch_vccnz .LBB18_1718
; %bb.1717:
	s_waitcnt vmcnt(0)
	v_cvt_i32_f32_e32 v2, v6
	global_store_dword v[0:1], v2, off
.LBB18_1718:
	s_mov_b64 s[0:1], 0
.LBB18_1719:
	s_andn2_b64 vcc, exec, s[0:1]
	s_cbranch_vccnz .LBB18_1721
; %bb.1720:
	s_waitcnt vmcnt(0)
	v_cvt_i32_f32_e32 v2, v6
	global_store_short v[0:1], v2, off
.LBB18_1721:
	s_mov_b64 s[0:1], 0
.LBB18_1722:
	s_andn2_b64 vcc, exec, s[0:1]
	s_cbranch_vccnz .LBB18_1727
; %bb.1723:
	s_sext_i32_i16 s0, s20
	s_cmp_gt_i32 s0, 0
	s_mov_b64 s[0:1], -1
	s_cbranch_scc0 .LBB18_1725
; %bb.1724:
	s_waitcnt vmcnt(0)
	v_cvt_i32_f32_e32 v2, v6
	s_mov_b64 s[0:1], 0
	global_store_byte v[0:1], v2, off
.LBB18_1725:
	s_andn2_b64 vcc, exec, s[0:1]
	s_cbranch_vccnz .LBB18_1727
; %bb.1726:
	s_waitcnt vmcnt(0)
	v_trunc_f32_e32 v2, v6
	s_mov_b32 s0, 0x2f800000
	v_mul_f32_e64 v3, |v2|, s0
	v_floor_f32_e32 v3, v3
	s_mov_b32 s0, 0xcf800000
	v_fma_f32 v3, v3, s0, |v2|
	v_cvt_u32_f32_e32 v3, v3
	v_ashrrev_i32_e32 v2, 31, v2
	v_xor_b32_e32 v3, v3, v2
	v_sub_u32_e32 v2, v3, v2
	global_store_byte v[0:1], v2, off
	s_endpgm
.LBB18_1727:
	s_endpgm
.LBB18_1728:
	s_mov_b64 s[0:1], -1
	s_mov_b64 s[12:13], 0
.LBB18_1729:
	s_and_b64 vcc, exec, s[0:1]
	s_cbranch_vccz .LBB18_1768
; %bb.1730:
	s_and_b32 s3, 0xffff, s20
	s_cmp_lt_i32 s3, 5
	s_mov_b64 s[0:1], -1
	s_cbranch_scc1 .LBB18_1751
; %bb.1731:
	s_cmp_lt_i32 s3, 8
	s_cbranch_scc1 .LBB18_1741
; %bb.1732:
	s_cmp_lt_i32 s3, 9
	s_cbranch_scc1 .LBB18_1738
; %bb.1733:
	s_cmp_gt_i32 s3, 9
	s_cbranch_scc0 .LBB18_1735
; %bb.1734:
	v_cvt_f64_f32_e32 v[9:10], v0
	v_mov_b32_e32 v11, 0
	v_mov_b32_e32 v12, v11
	s_mov_b64 s[0:1], 0
	global_store_dwordx4 v[7:8], v[9:12], off
.LBB18_1735:
	s_andn2_b64 vcc, exec, s[0:1]
	s_cbranch_vccnz .LBB18_1737
; %bb.1736:
	v_mov_b32_e32 v1, 0
	global_store_dwordx2 v[7:8], v[0:1], off
.LBB18_1737:
	s_mov_b64 s[0:1], 0
.LBB18_1738:
	s_andn2_b64 vcc, exec, s[0:1]
	s_cbranch_vccnz .LBB18_1740
; %bb.1739:
	v_cvt_f16_f32_e32 v1, v0
	global_store_dword v[7:8], v1, off
.LBB18_1740:
	s_mov_b64 s[0:1], 0
.LBB18_1741:
	s_andn2_b64 vcc, exec, s[0:1]
	s_cbranch_vccnz .LBB18_1750
; %bb.1742:
	s_cmp_lt_i32 s3, 6
	s_mov_b64 s[0:1], -1
	s_cbranch_scc1 .LBB18_1748
; %bb.1743:
	s_cmp_gt_i32 s3, 6
	s_cbranch_scc0 .LBB18_1745
; %bb.1744:
	v_cvt_f64_f32_e32 v[9:10], v0
	s_mov_b64 s[0:1], 0
	global_store_dwordx2 v[7:8], v[9:10], off
.LBB18_1745:
	s_andn2_b64 vcc, exec, s[0:1]
	s_cbranch_vccnz .LBB18_1747
; %bb.1746:
	global_store_dword v[7:8], v0, off
.LBB18_1747:
	s_mov_b64 s[0:1], 0
.LBB18_1748:
	s_andn2_b64 vcc, exec, s[0:1]
	s_cbranch_vccnz .LBB18_1750
; %bb.1749:
	v_cvt_f16_f32_e32 v1, v0
	global_store_short v[7:8], v1, off
.LBB18_1750:
	s_mov_b64 s[0:1], 0
.LBB18_1751:
	s_andn2_b64 vcc, exec, s[0:1]
	s_cbranch_vccnz .LBB18_1767
; %bb.1752:
	s_cmp_lt_i32 s3, 2
	s_mov_b64 s[0:1], -1
	s_cbranch_scc1 .LBB18_1762
; %bb.1753:
	s_cmp_lt_i32 s3, 3
	s_cbranch_scc1 .LBB18_1759
; %bb.1754:
	s_cmp_gt_i32 s3, 3
	s_cbranch_scc0 .LBB18_1756
; %bb.1755:
	v_trunc_f32_e32 v1, v0
	s_mov_b32 s0, 0x2f800000
	v_mul_f32_e64 v5, |v1|, s0
	v_floor_f32_e32 v5, v5
	s_mov_b32 s0, 0xcf800000
	v_cvt_u32_f32_e32 v9, v5
	v_fma_f32 v5, v5, s0, |v1|
	v_cvt_u32_f32_e32 v5, v5
	v_ashrrev_i32_e32 v1, 31, v1
	v_xor_b32_e32 v10, v9, v1
	s_mov_b64 s[0:1], 0
	v_xor_b32_e32 v5, v5, v1
	v_sub_co_u32_e32 v9, vcc, v5, v1
	v_subb_co_u32_e32 v10, vcc, v10, v1, vcc
	global_store_dwordx2 v[7:8], v[9:10], off
.LBB18_1756:
	s_andn2_b64 vcc, exec, s[0:1]
	s_cbranch_vccnz .LBB18_1758
; %bb.1757:
	v_cvt_i32_f32_e32 v1, v0
	global_store_dword v[7:8], v1, off
.LBB18_1758:
	s_mov_b64 s[0:1], 0
.LBB18_1759:
	s_andn2_b64 vcc, exec, s[0:1]
	s_cbranch_vccnz .LBB18_1761
; %bb.1760:
	v_cvt_i32_f32_e32 v1, v0
	global_store_short v[7:8], v1, off
.LBB18_1761:
	s_mov_b64 s[0:1], 0
.LBB18_1762:
	s_andn2_b64 vcc, exec, s[0:1]
	s_cbranch_vccnz .LBB18_1767
; %bb.1763:
	s_cmp_gt_i32 s3, 0
	s_mov_b64 s[0:1], -1
	s_cbranch_scc0 .LBB18_1765
; %bb.1764:
	v_cvt_i32_f32_e32 v1, v0
	s_mov_b64 s[0:1], 0
	global_store_byte v[7:8], v1, off
.LBB18_1765:
	s_andn2_b64 vcc, exec, s[0:1]
	s_cbranch_vccnz .LBB18_1767
; %bb.1766:
	v_trunc_f32_e32 v0, v0
	s_mov_b32 s0, 0x2f800000
	v_mul_f32_e64 v1, |v0|, s0
	v_floor_f32_e32 v1, v1
	s_mov_b32 s0, 0xcf800000
	v_fma_f32 v1, v1, s0, |v0|
	v_cvt_u32_f32_e32 v1, v1
	v_ashrrev_i32_e32 v0, 31, v0
	v_xor_b32_e32 v1, v1, v0
	v_sub_u32_e32 v0, v1, v0
	global_store_byte v[7:8], v0, off
.LBB18_1767:
	s_mov_b64 s[12:13], -1
.LBB18_1768:
	s_andn2_b64 vcc, exec, s[12:13]
	s_cbranch_vccnz .LBB18_2083
; %bb.1769:
	s_lshl_b32 s18, s2, 7
	v_add_u32_e32 v5, s18, v3
	v_ashrrev_i32_e32 v1, 31, v5
	v_mov_b32_e32 v3, s9
	v_add_co_u32_e32 v0, vcc, s8, v5
	s_cmp_lt_i32 s20, 11
	v_addc_co_u32_e32 v1, vcc, v3, v1, vcc
	s_cbranch_scc1 .LBB18_1847
; %bb.1770:
	s_and_b32 s19, 0xffff, s20
	s_mov_b64 s[12:13], -1
	s_mov_b64 s[2:3], 0
	s_cmp_gt_i32 s19, 25
	s_mov_b64 s[10:11], 0
	s_mov_b64 s[0:1], 0
	s_cbranch_scc0 .LBB18_1803
; %bb.1771:
	s_cmp_gt_i32 s19, 28
	s_cbranch_scc0 .LBB18_1786
; %bb.1772:
	s_cmp_gt_i32 s19, 43
	;; [unrolled: 3-line block ×3, first 2 shown]
	s_cbranch_scc0 .LBB18_1776
; %bb.1774:
	s_mov_b64 s[0:1], -1
	s_mov_b64 s[12:13], 0
	s_cmp_eq_u32 s19, 46
	s_cbranch_scc0 .LBB18_1776
; %bb.1775:
	v_bfe_u32 v3, v2, 16, 1
	s_movk_i32 s0, 0x7fff
	v_add3_u32 v3, v2, v3, s0
	v_cmp_o_f32_e32 vcc, v2, v2
	v_mov_b32_e32 v7, 0x7fc0
	v_cndmask_b32_sdwa v3, v7, v3, vcc dst_sel:DWORD dst_unused:UNUSED_PAD src0_sel:DWORD src1_sel:WORD_1
	global_store_dword v[0:1], v3, off
	s_mov_b64 s[0:1], 0
	s_mov_b64 s[10:11], -1
.LBB18_1776:
	s_and_b64 vcc, exec, s[12:13]
	s_cbranch_vccz .LBB18_1781
; %bb.1777:
	s_cmp_eq_u32 s19, 44
	s_mov_b64 s[0:1], -1
	s_cbranch_scc0 .LBB18_1781
; %bb.1778:
	v_bfe_u32 v3, v2, 23, 8
	s_movk_i32 s0, 0xff
	v_cmp_ne_u32_e32 vcc, s0, v3
	v_mov_b32_e32 v7, 0xff
	s_and_saveexec_b64 s[10:11], vcc
; %bb.1779:
	s_mov_b32 s0, 0x3fffff
	v_and_b32_e32 v8, 0x400000, v2
	v_and_or_b32 v3, v2, s0, v3
	v_cmp_ne_u32_e32 vcc, 0, v8
	v_cmp_ne_u32_e64 s[0:1], 0, v3
	s_and_b64 s[0:1], vcc, s[0:1]
	v_lshrrev_b32_e32 v7, 23, v2
	v_cndmask_b32_e64 v3, 0, 1, s[0:1]
	v_add_u32_e32 v7, v7, v3
; %bb.1780:
	s_or_b64 exec, exec, s[10:11]
	s_mov_b64 s[0:1], 0
	s_mov_b64 s[10:11], -1
	global_store_byte v[0:1], v7, off
.LBB18_1781:
	s_mov_b64 s[12:13], 0
.LBB18_1782:
	s_and_b64 vcc, exec, s[12:13]
	s_cbranch_vccz .LBB18_1785
; %bb.1783:
	s_cmp_eq_u32 s19, 29
	s_mov_b64 s[0:1], -1
	s_cbranch_scc0 .LBB18_1785
; %bb.1784:
	v_trunc_f32_e32 v3, v2
	v_mul_f32_e32 v7, 0x2f800000, v3
	v_floor_f32_e32 v7, v7
	v_fmac_f32_e32 v3, 0xcf800000, v7
	v_cvt_u32_f32_e32 v8, v7
	v_cvt_u32_f32_e32 v7, v3
	s_mov_b64 s[0:1], 0
	s_mov_b64 s[10:11], -1
	global_store_dwordx2 v[0:1], v[7:8], off
.LBB18_1785:
	s_mov_b64 s[12:13], 0
.LBB18_1786:
	s_and_b64 vcc, exec, s[12:13]
	s_cbranch_vccz .LBB18_1802
; %bb.1787:
	s_cmp_lt_i32 s19, 27
	s_mov_b64 s[10:11], -1
	s_cbranch_scc1 .LBB18_1793
; %bb.1788:
	v_cvt_u32_f32_e32 v3, v2
	s_cmp_gt_i32 s19, 27
	s_cbranch_scc0 .LBB18_1790
; %bb.1789:
	s_mov_b64 s[10:11], 0
	global_store_dword v[0:1], v3, off
.LBB18_1790:
	s_andn2_b64 vcc, exec, s[10:11]
	s_cbranch_vccnz .LBB18_1792
; %bb.1791:
	global_store_short v[0:1], v3, off
.LBB18_1792:
	s_mov_b64 s[10:11], 0
.LBB18_1793:
	s_andn2_b64 vcc, exec, s[10:11]
	s_cbranch_vccnz .LBB18_1801
; %bb.1794:
	v_and_b32_e32 v3, 0x7fffffff, v2
	s_mov_b32 s10, 0x43800000
	v_cmp_gt_u32_e32 vcc, s10, v3
	v_mov_b32_e32 v7, 0x80
	s_and_saveexec_b64 s[10:11], vcc
	s_cbranch_execz .LBB18_1800
; %bb.1795:
	s_mov_b32 s12, 0x3bffffff
	v_cmp_lt_u32_e32 vcc, s12, v3
	s_mov_b64 s[12:13], 0
                                        ; implicit-def: $vgpr3
	s_and_saveexec_b64 s[16:17], vcc
	s_xor_b64 s[16:17], exec, s[16:17]
	s_cbranch_execz .LBB18_2091
; %bb.1796:
	v_bfe_u32 v3, v2, 20, 1
	s_mov_b32 s21, 0x487ffff
	v_add3_u32 v3, v2, v3, s21
	s_mov_b64 s[12:13], exec
	v_lshrrev_b32_e32 v3, 20, v3
	s_andn2_saveexec_b64 s[16:17], s[16:17]
	s_cbranch_execnz .LBB18_2092
.LBB18_1797:
	s_or_b64 exec, exec, s[16:17]
	v_mov_b32_e32 v7, 0
	s_and_saveexec_b64 s[16:17], s[12:13]
.LBB18_1798:
	v_lshrrev_b32_e32 v7, 24, v2
	s_movk_i32 s12, 0x80
	v_and_or_b32 v7, v7, s12, v3
.LBB18_1799:
	s_or_b64 exec, exec, s[16:17]
.LBB18_1800:
	s_or_b64 exec, exec, s[10:11]
	global_store_byte v[0:1], v7, off
.LBB18_1801:
	s_mov_b64 s[10:11], -1
.LBB18_1802:
	s_mov_b64 s[12:13], 0
.LBB18_1803:
	s_and_b64 vcc, exec, s[12:13]
	s_cbranch_vccz .LBB18_1843
; %bb.1804:
	s_cmp_gt_i32 s19, 22
	s_mov_b64 s[2:3], -1
	s_cbranch_scc0 .LBB18_1836
; %bb.1805:
	s_cmp_lt_i32 s19, 24
	s_cbranch_scc1 .LBB18_1825
; %bb.1806:
	s_cmp_gt_i32 s19, 24
	s_cbranch_scc0 .LBB18_1814
; %bb.1807:
	v_and_b32_e32 v3, 0x7fffffff, v2
	s_mov_b32 s2, 0x47800000
	v_cmp_gt_u32_e32 vcc, s2, v3
	v_mov_b32_e32 v7, 0x80
	s_and_saveexec_b64 s[2:3], vcc
	s_cbranch_execz .LBB18_1813
; %bb.1808:
	s_mov_b32 s10, 0x37ffffff
	v_cmp_lt_u32_e32 vcc, s10, v3
	s_mov_b64 s[10:11], 0
                                        ; implicit-def: $vgpr3
	s_and_saveexec_b64 s[12:13], vcc
	s_xor_b64 s[12:13], exec, s[12:13]
	s_cbranch_execz .LBB18_2094
; %bb.1809:
	v_bfe_u32 v3, v2, 21, 1
	s_mov_b32 s16, 0x88fffff
	v_add3_u32 v3, v2, v3, s16
	s_mov_b64 s[10:11], exec
	v_lshrrev_b32_e32 v3, 21, v3
	s_andn2_saveexec_b64 s[12:13], s[12:13]
	s_cbranch_execnz .LBB18_2095
.LBB18_1810:
	s_or_b64 exec, exec, s[12:13]
	v_mov_b32_e32 v7, 0
	s_and_saveexec_b64 s[12:13], s[10:11]
.LBB18_1811:
	v_lshrrev_b32_e32 v7, 24, v2
	s_movk_i32 s10, 0x80
	v_and_or_b32 v7, v7, s10, v3
.LBB18_1812:
	s_or_b64 exec, exec, s[12:13]
.LBB18_1813:
	s_or_b64 exec, exec, s[2:3]
	s_mov_b64 s[2:3], 0
	global_store_byte v[0:1], v7, off
.LBB18_1814:
	s_and_b64 vcc, exec, s[2:3]
	s_cbranch_vccz .LBB18_1824
; %bb.1815:
	v_and_b32_e32 v7, 0x7fffffff, v2
	s_mov_b32 s2, 0x43f00000
	v_cmp_gt_u32_e32 vcc, s2, v7
                                        ; implicit-def: $vgpr3
	s_and_saveexec_b64 s[2:3], vcc
	s_xor_b64 s[2:3], exec, s[2:3]
	s_cbranch_execz .LBB18_1821
; %bb.1816:
	s_mov_b32 s10, 0x3c7fffff
	v_cmp_lt_u32_e32 vcc, s10, v7
                                        ; implicit-def: $vgpr3
	s_and_saveexec_b64 s[10:11], vcc
	s_xor_b64 s[10:11], exec, s[10:11]
; %bb.1817:
	v_bfe_u32 v3, v2, 20, 1
	s_mov_b32 s12, 0x407ffff
	v_add3_u32 v3, v2, v3, s12
	v_lshrrev_b32_e32 v7, 20, v3
	v_and_b32_e32 v3, 0xff00000, v3
	s_mov_b32 s12, 0x7f00000
	v_mov_b32_e32 v8, 0x7e
	v_cmp_ne_u32_e32 vcc, s12, v3
	v_cndmask_b32_e32 v3, v8, v7, vcc
; %bb.1818:
	s_andn2_saveexec_b64 s[10:11], s[10:11]
; %bb.1819:
	s_mov_b32 s12, 0x46800000
	v_add_f32_e64 v3, |v2|, s12
; %bb.1820:
	s_or_b64 exec, exec, s[10:11]
                                        ; implicit-def: $vgpr7
.LBB18_1821:
	s_andn2_saveexec_b64 s[2:3], s[2:3]
; %bb.1822:
	s_mov_b32 s10, 0x7f800000
	v_mov_b32_e32 v3, 0x7e
	v_mov_b32_e32 v8, 0x7f
	v_cmp_lt_u32_e32 vcc, s10, v7
	v_cndmask_b32_e32 v3, v3, v8, vcc
; %bb.1823:
	s_or_b64 exec, exec, s[2:3]
	v_lshrrev_b32_e32 v7, 24, v2
	s_movk_i32 s2, 0x80
	v_and_or_b32 v3, v7, s2, v3
	global_store_byte v[0:1], v3, off
.LBB18_1824:
	s_mov_b64 s[2:3], 0
.LBB18_1825:
	s_andn2_b64 vcc, exec, s[2:3]
	s_cbranch_vccnz .LBB18_1835
; %bb.1826:
	v_and_b32_e32 v7, 0x7fffffff, v2
	s_mov_b32 s2, 0x47800000
	v_cmp_gt_u32_e32 vcc, s2, v7
                                        ; implicit-def: $vgpr3
	s_and_saveexec_b64 s[2:3], vcc
	s_xor_b64 s[2:3], exec, s[2:3]
	s_cbranch_execz .LBB18_1832
; %bb.1827:
	s_mov_b32 s10, 0x387fffff
	v_cmp_lt_u32_e32 vcc, s10, v7
                                        ; implicit-def: $vgpr3
	s_and_saveexec_b64 s[10:11], vcc
	s_xor_b64 s[10:11], exec, s[10:11]
; %bb.1828:
	v_bfe_u32 v3, v2, 21, 1
	s_mov_b32 s12, 0x80fffff
	v_add3_u32 v3, v2, v3, s12
	v_lshrrev_b32_e32 v3, 21, v3
; %bb.1829:
	s_andn2_saveexec_b64 s[10:11], s[10:11]
; %bb.1830:
	s_mov_b32 s12, 0x43000000
	v_add_f32_e64 v3, |v2|, s12
; %bb.1831:
	s_or_b64 exec, exec, s[10:11]
                                        ; implicit-def: $vgpr7
.LBB18_1832:
	s_andn2_saveexec_b64 s[2:3], s[2:3]
; %bb.1833:
	s_mov_b32 s10, 0x7f800000
	v_mov_b32_e32 v3, 0x7c
	v_mov_b32_e32 v8, 0x7f
	v_cmp_lt_u32_e32 vcc, s10, v7
	v_cndmask_b32_e32 v3, v3, v8, vcc
; %bb.1834:
	s_or_b64 exec, exec, s[2:3]
	v_lshrrev_b32_e32 v7, 24, v2
	s_movk_i32 s2, 0x80
	v_and_or_b32 v3, v7, s2, v3
	global_store_byte v[0:1], v3, off
.LBB18_1835:
	s_mov_b64 s[2:3], 0
	s_mov_b64 s[10:11], -1
.LBB18_1836:
	s_andn2_b64 vcc, exec, s[2:3]
	s_mov_b64 s[2:3], 0
	s_cbranch_vccnz .LBB18_1843
; %bb.1837:
	s_cmp_gt_i32 s19, 14
	s_mov_b64 s[12:13], -1
	s_cbranch_scc0 .LBB18_1841
; %bb.1838:
	s_cmp_eq_u32 s19, 15
	s_mov_b64 s[0:1], -1
	s_cbranch_scc0 .LBB18_1840
; %bb.1839:
	v_bfe_u32 v3, v2, 16, 1
	s_movk_i32 s0, 0x7fff
	v_add3_u32 v3, v2, v3, s0
	v_cmp_o_f32_e32 vcc, v2, v2
	v_mov_b32_e32 v7, 0x7fc0
	v_cndmask_b32_sdwa v3, v7, v3, vcc dst_sel:DWORD dst_unused:UNUSED_PAD src0_sel:DWORD src1_sel:WORD_1
	global_store_short v[0:1], v3, off
	s_mov_b64 s[0:1], 0
	s_mov_b64 s[10:11], -1
.LBB18_1840:
	s_mov_b64 s[12:13], 0
.LBB18_1841:
	s_and_b64 vcc, exec, s[12:13]
	s_cbranch_vccz .LBB18_1843
; %bb.1842:
	s_cmp_lg_u32 s19, 11
	s_mov_b64 s[2:3], -1
	s_cselect_b64 s[0:1], -1, 0
.LBB18_1843:
	s_and_b64 vcc, exec, s[0:1]
	s_cbranch_vccnz .LBB18_2093
; %bb.1844:
	s_andn2_b64 vcc, exec, s[2:3]
	s_cbranch_vccnz .LBB18_1846
.LBB18_1845:
	v_cmp_neq_f32_e32 vcc, 0, v2
	v_cndmask_b32_e64 v3, 0, 1, vcc
	s_mov_b64 s[10:11], -1
	global_store_byte v[0:1], v3, off
.LBB18_1846:
	s_mov_b64 s[0:1], 0
	s_branch .LBB18_1848
.LBB18_1847:
	s_mov_b64 s[0:1], -1
	s_mov_b64 s[10:11], 0
.LBB18_1848:
	s_and_b64 vcc, exec, s[0:1]
	s_cbranch_vccz .LBB18_1887
; %bb.1849:
	s_and_b32 s2, 0xffff, s20
	s_cmp_lt_i32 s2, 5
	s_mov_b64 s[0:1], -1
	s_cbranch_scc1 .LBB18_1870
; %bb.1850:
	s_cmp_lt_i32 s2, 8
	s_cbranch_scc1 .LBB18_1860
; %bb.1851:
	s_cmp_lt_i32 s2, 9
	s_cbranch_scc1 .LBB18_1857
; %bb.1852:
	s_cmp_gt_i32 s2, 9
	s_cbranch_scc0 .LBB18_1854
; %bb.1853:
	v_cvt_f64_f32_e32 v[7:8], v2
	v_mov_b32_e32 v9, 0
	v_mov_b32_e32 v10, v9
	s_mov_b64 s[0:1], 0
	global_store_dwordx4 v[0:1], v[7:10], off
.LBB18_1854:
	s_andn2_b64 vcc, exec, s[0:1]
	s_cbranch_vccnz .LBB18_1856
; %bb.1855:
	v_mov_b32_e32 v3, 0
	global_store_dwordx2 v[0:1], v[2:3], off
.LBB18_1856:
	s_mov_b64 s[0:1], 0
.LBB18_1857:
	s_andn2_b64 vcc, exec, s[0:1]
	s_cbranch_vccnz .LBB18_1859
; %bb.1858:
	v_cvt_f16_f32_e32 v3, v2
	global_store_dword v[0:1], v3, off
.LBB18_1859:
	s_mov_b64 s[0:1], 0
.LBB18_1860:
	s_andn2_b64 vcc, exec, s[0:1]
	s_cbranch_vccnz .LBB18_1869
; %bb.1861:
	s_cmp_lt_i32 s2, 6
	s_mov_b64 s[0:1], -1
	s_cbranch_scc1 .LBB18_1867
; %bb.1862:
	s_cmp_gt_i32 s2, 6
	s_cbranch_scc0 .LBB18_1864
; %bb.1863:
	v_cvt_f64_f32_e32 v[7:8], v2
	s_mov_b64 s[0:1], 0
	global_store_dwordx2 v[0:1], v[7:8], off
.LBB18_1864:
	s_andn2_b64 vcc, exec, s[0:1]
	s_cbranch_vccnz .LBB18_1866
; %bb.1865:
	global_store_dword v[0:1], v2, off
.LBB18_1866:
	s_mov_b64 s[0:1], 0
.LBB18_1867:
	s_andn2_b64 vcc, exec, s[0:1]
	s_cbranch_vccnz .LBB18_1869
; %bb.1868:
	v_cvt_f16_f32_e32 v3, v2
	global_store_short v[0:1], v3, off
.LBB18_1869:
	s_mov_b64 s[0:1], 0
.LBB18_1870:
	s_andn2_b64 vcc, exec, s[0:1]
	s_cbranch_vccnz .LBB18_1886
; %bb.1871:
	s_cmp_lt_i32 s2, 2
	s_mov_b64 s[0:1], -1
	s_cbranch_scc1 .LBB18_1881
; %bb.1872:
	s_cmp_lt_i32 s2, 3
	s_cbranch_scc1 .LBB18_1878
; %bb.1873:
	s_cmp_gt_i32 s2, 3
	s_cbranch_scc0 .LBB18_1875
; %bb.1874:
	v_trunc_f32_e32 v3, v2
	s_mov_b32 s0, 0x2f800000
	v_mul_f32_e64 v7, |v3|, s0
	v_floor_f32_e32 v7, v7
	s_mov_b32 s0, 0xcf800000
	v_cvt_u32_f32_e32 v8, v7
	v_fma_f32 v7, v7, s0, |v3|
	v_cvt_u32_f32_e32 v7, v7
	v_ashrrev_i32_e32 v3, 31, v3
	v_xor_b32_e32 v8, v8, v3
	s_mov_b64 s[0:1], 0
	v_xor_b32_e32 v7, v7, v3
	v_sub_co_u32_e32 v7, vcc, v7, v3
	v_subb_co_u32_e32 v8, vcc, v8, v3, vcc
	global_store_dwordx2 v[0:1], v[7:8], off
.LBB18_1875:
	s_andn2_b64 vcc, exec, s[0:1]
	s_cbranch_vccnz .LBB18_1877
; %bb.1876:
	v_cvt_i32_f32_e32 v3, v2
	global_store_dword v[0:1], v3, off
.LBB18_1877:
	s_mov_b64 s[0:1], 0
.LBB18_1878:
	s_andn2_b64 vcc, exec, s[0:1]
	s_cbranch_vccnz .LBB18_1880
; %bb.1879:
	v_cvt_i32_f32_e32 v3, v2
	global_store_short v[0:1], v3, off
.LBB18_1880:
	s_mov_b64 s[0:1], 0
.LBB18_1881:
	s_andn2_b64 vcc, exec, s[0:1]
	s_cbranch_vccnz .LBB18_1886
; %bb.1882:
	s_cmp_gt_i32 s2, 0
	s_mov_b64 s[0:1], -1
	s_cbranch_scc0 .LBB18_1884
; %bb.1883:
	v_cvt_i32_f32_e32 v3, v2
	s_mov_b64 s[0:1], 0
	global_store_byte v[0:1], v3, off
.LBB18_1884:
	s_andn2_b64 vcc, exec, s[0:1]
	s_cbranch_vccnz .LBB18_1886
; %bb.1885:
	v_trunc_f32_e32 v2, v2
	s_mov_b32 s0, 0x2f800000
	v_mul_f32_e64 v3, |v2|, s0
	v_floor_f32_e32 v3, v3
	s_mov_b32 s0, 0xcf800000
	v_fma_f32 v3, v3, s0, |v2|
	v_cvt_u32_f32_e32 v3, v3
	v_ashrrev_i32_e32 v2, 31, v2
	v_xor_b32_e32 v3, v3, v2
	v_sub_u32_e32 v2, v3, v2
	global_store_byte v[0:1], v2, off
.LBB18_1886:
	s_mov_b64 s[10:11], -1
.LBB18_1887:
	s_andn2_b64 vcc, exec, s[10:11]
	s_cbranch_vccnz .LBB18_2083
; %bb.1888:
	v_add_u32_e32 v2, s18, v5
	v_ashrrev_i32_e32 v1, 31, v2
	v_mov_b32_e32 v3, s9
	v_add_co_u32_e32 v0, vcc, s8, v2
	s_cmp_lt_i32 s20, 11
	v_addc_co_u32_e32 v1, vcc, v3, v1, vcc
	s_cbranch_scc1 .LBB18_1966
; %bb.1889:
	s_and_b32 s19, 0xffff, s20
	s_mov_b64 s[12:13], -1
	s_mov_b64 s[2:3], 0
	s_cmp_gt_i32 s19, 25
	s_mov_b64 s[10:11], 0
	s_mov_b64 s[0:1], 0
	s_cbranch_scc0 .LBB18_1922
; %bb.1890:
	s_cmp_gt_i32 s19, 28
	s_cbranch_scc0 .LBB18_1905
; %bb.1891:
	s_cmp_gt_i32 s19, 43
	;; [unrolled: 3-line block ×3, first 2 shown]
	s_cbranch_scc0 .LBB18_1895
; %bb.1893:
	s_mov_b64 s[0:1], -1
	s_mov_b64 s[12:13], 0
	s_cmp_eq_u32 s19, 46
	s_cbranch_scc0 .LBB18_1895
; %bb.1894:
	v_bfe_u32 v3, v4, 16, 1
	s_movk_i32 s0, 0x7fff
	v_add3_u32 v3, v4, v3, s0
	v_cmp_o_f32_e32 vcc, v4, v4
	v_mov_b32_e32 v5, 0x7fc0
	v_cndmask_b32_sdwa v3, v5, v3, vcc dst_sel:DWORD dst_unused:UNUSED_PAD src0_sel:DWORD src1_sel:WORD_1
	global_store_dword v[0:1], v3, off
	s_mov_b64 s[0:1], 0
	s_mov_b64 s[10:11], -1
.LBB18_1895:
	s_and_b64 vcc, exec, s[12:13]
	s_cbranch_vccz .LBB18_1900
; %bb.1896:
	s_cmp_eq_u32 s19, 44
	s_mov_b64 s[0:1], -1
	s_cbranch_scc0 .LBB18_1900
; %bb.1897:
	v_bfe_u32 v3, v4, 23, 8
	s_movk_i32 s0, 0xff
	v_cmp_ne_u32_e32 vcc, s0, v3
	v_mov_b32_e32 v5, 0xff
	s_and_saveexec_b64 s[10:11], vcc
; %bb.1898:
	s_mov_b32 s0, 0x3fffff
	v_and_b32_e32 v7, 0x400000, v4
	v_and_or_b32 v3, v4, s0, v3
	v_cmp_ne_u32_e32 vcc, 0, v7
	v_cmp_ne_u32_e64 s[0:1], 0, v3
	s_and_b64 s[0:1], vcc, s[0:1]
	v_lshrrev_b32_e32 v5, 23, v4
	v_cndmask_b32_e64 v3, 0, 1, s[0:1]
	v_add_u32_e32 v5, v5, v3
; %bb.1899:
	s_or_b64 exec, exec, s[10:11]
	s_mov_b64 s[0:1], 0
	s_mov_b64 s[10:11], -1
	global_store_byte v[0:1], v5, off
.LBB18_1900:
	s_mov_b64 s[12:13], 0
.LBB18_1901:
	s_and_b64 vcc, exec, s[12:13]
	s_cbranch_vccz .LBB18_1904
; %bb.1902:
	s_cmp_eq_u32 s19, 29
	s_mov_b64 s[0:1], -1
	s_cbranch_scc0 .LBB18_1904
; %bb.1903:
	v_trunc_f32_e32 v3, v4
	v_mul_f32_e32 v5, 0x2f800000, v3
	v_floor_f32_e32 v5, v5
	v_fmac_f32_e32 v3, 0xcf800000, v5
	v_cvt_u32_f32_e32 v8, v5
	v_cvt_u32_f32_e32 v7, v3
	s_mov_b64 s[0:1], 0
	s_mov_b64 s[10:11], -1
	global_store_dwordx2 v[0:1], v[7:8], off
.LBB18_1904:
	s_mov_b64 s[12:13], 0
.LBB18_1905:
	s_and_b64 vcc, exec, s[12:13]
	s_cbranch_vccz .LBB18_1921
; %bb.1906:
	s_cmp_lt_i32 s19, 27
	s_mov_b64 s[10:11], -1
	s_cbranch_scc1 .LBB18_1912
; %bb.1907:
	v_cvt_u32_f32_e32 v3, v4
	s_cmp_gt_i32 s19, 27
	s_cbranch_scc0 .LBB18_1909
; %bb.1908:
	s_mov_b64 s[10:11], 0
	global_store_dword v[0:1], v3, off
.LBB18_1909:
	s_andn2_b64 vcc, exec, s[10:11]
	s_cbranch_vccnz .LBB18_1911
; %bb.1910:
	global_store_short v[0:1], v3, off
.LBB18_1911:
	s_mov_b64 s[10:11], 0
.LBB18_1912:
	s_andn2_b64 vcc, exec, s[10:11]
	s_cbranch_vccnz .LBB18_1920
; %bb.1913:
	v_and_b32_e32 v3, 0x7fffffff, v4
	s_mov_b32 s10, 0x43800000
	v_cmp_gt_u32_e32 vcc, s10, v3
	v_mov_b32_e32 v5, 0x80
	s_and_saveexec_b64 s[10:11], vcc
	s_cbranch_execz .LBB18_1919
; %bb.1914:
	s_mov_b32 s12, 0x3bffffff
	v_cmp_lt_u32_e32 vcc, s12, v3
	s_mov_b64 s[12:13], 0
                                        ; implicit-def: $vgpr3
	s_and_saveexec_b64 s[16:17], vcc
	s_xor_b64 s[16:17], exec, s[16:17]
	s_cbranch_execz .LBB18_2096
; %bb.1915:
	v_bfe_u32 v3, v4, 20, 1
	s_mov_b32 s21, 0x487ffff
	v_add3_u32 v3, v4, v3, s21
	s_mov_b64 s[12:13], exec
	v_lshrrev_b32_e32 v3, 20, v3
	s_andn2_saveexec_b64 s[16:17], s[16:17]
	s_cbranch_execnz .LBB18_2097
.LBB18_1916:
	s_or_b64 exec, exec, s[16:17]
	v_mov_b32_e32 v5, 0
	s_and_saveexec_b64 s[16:17], s[12:13]
.LBB18_1917:
	v_lshrrev_b32_e32 v5, 24, v4
	s_movk_i32 s12, 0x80
	v_and_or_b32 v5, v5, s12, v3
.LBB18_1918:
	s_or_b64 exec, exec, s[16:17]
.LBB18_1919:
	s_or_b64 exec, exec, s[10:11]
	global_store_byte v[0:1], v5, off
.LBB18_1920:
	s_mov_b64 s[10:11], -1
.LBB18_1921:
	s_mov_b64 s[12:13], 0
.LBB18_1922:
	s_and_b64 vcc, exec, s[12:13]
	s_cbranch_vccz .LBB18_1962
; %bb.1923:
	s_cmp_gt_i32 s19, 22
	s_mov_b64 s[2:3], -1
	s_cbranch_scc0 .LBB18_1955
; %bb.1924:
	s_cmp_lt_i32 s19, 24
	s_cbranch_scc1 .LBB18_1944
; %bb.1925:
	s_cmp_gt_i32 s19, 24
	s_cbranch_scc0 .LBB18_1933
; %bb.1926:
	v_and_b32_e32 v3, 0x7fffffff, v4
	s_mov_b32 s2, 0x47800000
	v_cmp_gt_u32_e32 vcc, s2, v3
	v_mov_b32_e32 v5, 0x80
	s_and_saveexec_b64 s[2:3], vcc
	s_cbranch_execz .LBB18_1932
; %bb.1927:
	s_mov_b32 s10, 0x37ffffff
	v_cmp_lt_u32_e32 vcc, s10, v3
	s_mov_b64 s[10:11], 0
                                        ; implicit-def: $vgpr3
	s_and_saveexec_b64 s[12:13], vcc
	s_xor_b64 s[12:13], exec, s[12:13]
	s_cbranch_execz .LBB18_2099
; %bb.1928:
	v_bfe_u32 v3, v4, 21, 1
	s_mov_b32 s16, 0x88fffff
	v_add3_u32 v3, v4, v3, s16
	s_mov_b64 s[10:11], exec
	v_lshrrev_b32_e32 v3, 21, v3
	s_andn2_saveexec_b64 s[12:13], s[12:13]
	s_cbranch_execnz .LBB18_2100
.LBB18_1929:
	s_or_b64 exec, exec, s[12:13]
	v_mov_b32_e32 v5, 0
	s_and_saveexec_b64 s[12:13], s[10:11]
.LBB18_1930:
	v_lshrrev_b32_e32 v5, 24, v4
	s_movk_i32 s10, 0x80
	v_and_or_b32 v5, v5, s10, v3
.LBB18_1931:
	s_or_b64 exec, exec, s[12:13]
.LBB18_1932:
	s_or_b64 exec, exec, s[2:3]
	s_mov_b64 s[2:3], 0
	global_store_byte v[0:1], v5, off
.LBB18_1933:
	s_and_b64 vcc, exec, s[2:3]
	s_cbranch_vccz .LBB18_1943
; %bb.1934:
	v_and_b32_e32 v5, 0x7fffffff, v4
	s_mov_b32 s2, 0x43f00000
	v_cmp_gt_u32_e32 vcc, s2, v5
                                        ; implicit-def: $vgpr3
	s_and_saveexec_b64 s[2:3], vcc
	s_xor_b64 s[2:3], exec, s[2:3]
	s_cbranch_execz .LBB18_1940
; %bb.1935:
	s_mov_b32 s10, 0x3c7fffff
	v_cmp_lt_u32_e32 vcc, s10, v5
                                        ; implicit-def: $vgpr3
	s_and_saveexec_b64 s[10:11], vcc
	s_xor_b64 s[10:11], exec, s[10:11]
; %bb.1936:
	v_bfe_u32 v3, v4, 20, 1
	s_mov_b32 s12, 0x407ffff
	v_add3_u32 v3, v4, v3, s12
	v_lshrrev_b32_e32 v5, 20, v3
	v_and_b32_e32 v3, 0xff00000, v3
	s_mov_b32 s12, 0x7f00000
	v_mov_b32_e32 v7, 0x7e
	v_cmp_ne_u32_e32 vcc, s12, v3
	v_cndmask_b32_e32 v3, v7, v5, vcc
; %bb.1937:
	s_andn2_saveexec_b64 s[10:11], s[10:11]
; %bb.1938:
	s_mov_b32 s12, 0x46800000
	v_add_f32_e64 v3, |v4|, s12
; %bb.1939:
	s_or_b64 exec, exec, s[10:11]
                                        ; implicit-def: $vgpr5
.LBB18_1940:
	s_andn2_saveexec_b64 s[2:3], s[2:3]
; %bb.1941:
	s_mov_b32 s10, 0x7f800000
	v_mov_b32_e32 v3, 0x7e
	v_mov_b32_e32 v7, 0x7f
	v_cmp_lt_u32_e32 vcc, s10, v5
	v_cndmask_b32_e32 v3, v3, v7, vcc
; %bb.1942:
	s_or_b64 exec, exec, s[2:3]
	v_lshrrev_b32_e32 v5, 24, v4
	s_movk_i32 s2, 0x80
	v_and_or_b32 v3, v5, s2, v3
	global_store_byte v[0:1], v3, off
.LBB18_1943:
	s_mov_b64 s[2:3], 0
.LBB18_1944:
	s_andn2_b64 vcc, exec, s[2:3]
	s_cbranch_vccnz .LBB18_1954
; %bb.1945:
	v_and_b32_e32 v5, 0x7fffffff, v4
	s_mov_b32 s2, 0x47800000
	v_cmp_gt_u32_e32 vcc, s2, v5
                                        ; implicit-def: $vgpr3
	s_and_saveexec_b64 s[2:3], vcc
	s_xor_b64 s[2:3], exec, s[2:3]
	s_cbranch_execz .LBB18_1951
; %bb.1946:
	s_mov_b32 s10, 0x387fffff
	v_cmp_lt_u32_e32 vcc, s10, v5
                                        ; implicit-def: $vgpr3
	s_and_saveexec_b64 s[10:11], vcc
	s_xor_b64 s[10:11], exec, s[10:11]
; %bb.1947:
	v_bfe_u32 v3, v4, 21, 1
	s_mov_b32 s12, 0x80fffff
	v_add3_u32 v3, v4, v3, s12
	v_lshrrev_b32_e32 v3, 21, v3
; %bb.1948:
	s_andn2_saveexec_b64 s[10:11], s[10:11]
; %bb.1949:
	s_mov_b32 s12, 0x43000000
	v_add_f32_e64 v3, |v4|, s12
; %bb.1950:
	s_or_b64 exec, exec, s[10:11]
                                        ; implicit-def: $vgpr5
.LBB18_1951:
	s_andn2_saveexec_b64 s[2:3], s[2:3]
; %bb.1952:
	s_mov_b32 s10, 0x7f800000
	v_mov_b32_e32 v3, 0x7c
	v_mov_b32_e32 v7, 0x7f
	v_cmp_lt_u32_e32 vcc, s10, v5
	v_cndmask_b32_e32 v3, v3, v7, vcc
; %bb.1953:
	s_or_b64 exec, exec, s[2:3]
	v_lshrrev_b32_e32 v5, 24, v4
	s_movk_i32 s2, 0x80
	v_and_or_b32 v3, v5, s2, v3
	global_store_byte v[0:1], v3, off
.LBB18_1954:
	s_mov_b64 s[2:3], 0
	s_mov_b64 s[10:11], -1
.LBB18_1955:
	s_andn2_b64 vcc, exec, s[2:3]
	s_mov_b64 s[2:3], 0
	s_cbranch_vccnz .LBB18_1962
; %bb.1956:
	s_cmp_gt_i32 s19, 14
	s_mov_b64 s[12:13], -1
	s_cbranch_scc0 .LBB18_1960
; %bb.1957:
	s_cmp_eq_u32 s19, 15
	s_mov_b64 s[0:1], -1
	s_cbranch_scc0 .LBB18_1959
; %bb.1958:
	v_bfe_u32 v3, v4, 16, 1
	s_movk_i32 s0, 0x7fff
	v_add3_u32 v3, v4, v3, s0
	v_cmp_o_f32_e32 vcc, v4, v4
	v_mov_b32_e32 v5, 0x7fc0
	v_cndmask_b32_sdwa v3, v5, v3, vcc dst_sel:DWORD dst_unused:UNUSED_PAD src0_sel:DWORD src1_sel:WORD_1
	global_store_short v[0:1], v3, off
	s_mov_b64 s[0:1], 0
	s_mov_b64 s[10:11], -1
.LBB18_1959:
	s_mov_b64 s[12:13], 0
.LBB18_1960:
	s_and_b64 vcc, exec, s[12:13]
	s_cbranch_vccz .LBB18_1962
; %bb.1961:
	s_cmp_lg_u32 s19, 11
	s_mov_b64 s[2:3], -1
	s_cselect_b64 s[0:1], -1, 0
.LBB18_1962:
	s_and_b64 vcc, exec, s[0:1]
	s_cbranch_vccnz .LBB18_2098
; %bb.1963:
	s_andn2_b64 vcc, exec, s[2:3]
	s_cbranch_vccnz .LBB18_1965
.LBB18_1964:
	v_cmp_neq_f32_e32 vcc, 0, v4
	v_cndmask_b32_e64 v3, 0, 1, vcc
	s_mov_b64 s[10:11], -1
	global_store_byte v[0:1], v3, off
.LBB18_1965:
	s_mov_b64 s[0:1], 0
	s_branch .LBB18_1967
.LBB18_1966:
	s_mov_b64 s[0:1], -1
	s_mov_b64 s[10:11], 0
.LBB18_1967:
	s_and_b64 vcc, exec, s[0:1]
	s_cbranch_vccz .LBB18_2006
; %bb.1968:
	s_and_b32 s2, 0xffff, s20
	s_cmp_lt_i32 s2, 5
	s_mov_b64 s[0:1], -1
	s_cbranch_scc1 .LBB18_1989
; %bb.1969:
	s_cmp_lt_i32 s2, 8
	s_cbranch_scc1 .LBB18_1979
; %bb.1970:
	s_cmp_lt_i32 s2, 9
	s_cbranch_scc1 .LBB18_1976
; %bb.1971:
	s_cmp_gt_i32 s2, 9
	s_cbranch_scc0 .LBB18_1973
; %bb.1972:
	v_cvt_f64_f32_e32 v[7:8], v4
	v_mov_b32_e32 v9, 0
	v_mov_b32_e32 v10, v9
	s_mov_b64 s[0:1], 0
	global_store_dwordx4 v[0:1], v[7:10], off
.LBB18_1973:
	s_andn2_b64 vcc, exec, s[0:1]
	s_cbranch_vccnz .LBB18_1975
; %bb.1974:
	v_mov_b32_e32 v5, 0
	global_store_dwordx2 v[0:1], v[4:5], off
.LBB18_1975:
	s_mov_b64 s[0:1], 0
.LBB18_1976:
	s_andn2_b64 vcc, exec, s[0:1]
	s_cbranch_vccnz .LBB18_1978
; %bb.1977:
	v_cvt_f16_f32_e32 v3, v4
	global_store_dword v[0:1], v3, off
.LBB18_1978:
	s_mov_b64 s[0:1], 0
.LBB18_1979:
	s_andn2_b64 vcc, exec, s[0:1]
	s_cbranch_vccnz .LBB18_1988
; %bb.1980:
	s_cmp_lt_i32 s2, 6
	s_mov_b64 s[0:1], -1
	s_cbranch_scc1 .LBB18_1986
; %bb.1981:
	s_cmp_gt_i32 s2, 6
	s_cbranch_scc0 .LBB18_1983
; %bb.1982:
	v_cvt_f64_f32_e32 v[7:8], v4
	s_mov_b64 s[0:1], 0
	global_store_dwordx2 v[0:1], v[7:8], off
.LBB18_1983:
	s_andn2_b64 vcc, exec, s[0:1]
	s_cbranch_vccnz .LBB18_1985
; %bb.1984:
	global_store_dword v[0:1], v4, off
.LBB18_1985:
	s_mov_b64 s[0:1], 0
.LBB18_1986:
	s_andn2_b64 vcc, exec, s[0:1]
	s_cbranch_vccnz .LBB18_1988
; %bb.1987:
	v_cvt_f16_f32_e32 v3, v4
	global_store_short v[0:1], v3, off
.LBB18_1988:
	s_mov_b64 s[0:1], 0
.LBB18_1989:
	s_andn2_b64 vcc, exec, s[0:1]
	s_cbranch_vccnz .LBB18_2005
; %bb.1990:
	s_cmp_lt_i32 s2, 2
	s_mov_b64 s[0:1], -1
	s_cbranch_scc1 .LBB18_2000
; %bb.1991:
	s_cmp_lt_i32 s2, 3
	s_cbranch_scc1 .LBB18_1997
; %bb.1992:
	s_cmp_gt_i32 s2, 3
	s_cbranch_scc0 .LBB18_1994
; %bb.1993:
	v_trunc_f32_e32 v3, v4
	s_mov_b32 s0, 0x2f800000
	v_mul_f32_e64 v5, |v3|, s0
	v_floor_f32_e32 v5, v5
	s_mov_b32 s0, 0xcf800000
	v_cvt_u32_f32_e32 v7, v5
	v_fma_f32 v5, v5, s0, |v3|
	v_cvt_u32_f32_e32 v5, v5
	v_ashrrev_i32_e32 v3, 31, v3
	v_xor_b32_e32 v8, v7, v3
	s_mov_b64 s[0:1], 0
	v_xor_b32_e32 v5, v5, v3
	v_sub_co_u32_e32 v7, vcc, v5, v3
	v_subb_co_u32_e32 v8, vcc, v8, v3, vcc
	global_store_dwordx2 v[0:1], v[7:8], off
.LBB18_1994:
	s_andn2_b64 vcc, exec, s[0:1]
	s_cbranch_vccnz .LBB18_1996
; %bb.1995:
	v_cvt_i32_f32_e32 v3, v4
	global_store_dword v[0:1], v3, off
.LBB18_1996:
	s_mov_b64 s[0:1], 0
.LBB18_1997:
	s_andn2_b64 vcc, exec, s[0:1]
	s_cbranch_vccnz .LBB18_1999
; %bb.1998:
	v_cvt_i32_f32_e32 v3, v4
	global_store_short v[0:1], v3, off
.LBB18_1999:
	s_mov_b64 s[0:1], 0
.LBB18_2000:
	s_andn2_b64 vcc, exec, s[0:1]
	s_cbranch_vccnz .LBB18_2005
; %bb.2001:
	s_cmp_gt_i32 s2, 0
	s_mov_b64 s[0:1], -1
	s_cbranch_scc0 .LBB18_2003
; %bb.2002:
	v_cvt_i32_f32_e32 v3, v4
	s_mov_b64 s[0:1], 0
	global_store_byte v[0:1], v3, off
.LBB18_2003:
	s_andn2_b64 vcc, exec, s[0:1]
	s_cbranch_vccnz .LBB18_2005
; %bb.2004:
	v_trunc_f32_e32 v3, v4
	s_mov_b32 s0, 0x2f800000
	v_mul_f32_e64 v4, |v3|, s0
	v_floor_f32_e32 v4, v4
	s_mov_b32 s0, 0xcf800000
	v_fma_f32 v4, v4, s0, |v3|
	v_cvt_u32_f32_e32 v4, v4
	v_ashrrev_i32_e32 v3, 31, v3
	v_xor_b32_e32 v4, v4, v3
	v_sub_u32_e32 v3, v4, v3
	global_store_byte v[0:1], v3, off
.LBB18_2005:
	s_mov_b64 s[10:11], -1
.LBB18_2006:
	s_andn2_b64 vcc, exec, s[10:11]
	s_cbranch_vccnz .LBB18_2083
; %bb.2007:
	v_add_u32_e32 v0, s18, v2
	v_ashrrev_i32_e32 v1, 31, v0
	v_mov_b32_e32 v2, s9
	v_add_co_u32_e32 v0, vcc, s8, v0
	s_cmp_lt_i32 s20, 11
	v_addc_co_u32_e32 v1, vcc, v2, v1, vcc
	s_cbranch_scc1 .LBB18_2084
; %bb.2008:
	s_and_b32 s16, 0xffff, s20
	s_mov_b64 s[8:9], -1
	s_mov_b64 s[2:3], 0
	s_cmp_gt_i32 s16, 25
	s_mov_b64 s[0:1], 0
	s_cbranch_scc0 .LBB18_2041
; %bb.2009:
	s_cmp_gt_i32 s16, 28
	s_cbranch_scc0 .LBB18_2025
; %bb.2010:
	s_cmp_gt_i32 s16, 43
	;; [unrolled: 3-line block ×3, first 2 shown]
	s_cbranch_scc0 .LBB18_2015
; %bb.2012:
	s_cmp_eq_u32 s16, 46
	s_mov_b64 s[0:1], -1
	s_cbranch_scc0 .LBB18_2014
; %bb.2013:
	v_bfe_u32 v2, v6, 16, 1
	s_movk_i32 s0, 0x7fff
	v_add3_u32 v2, v6, v2, s0
	v_cmp_o_f32_e32 vcc, v6, v6
	v_mov_b32_e32 v3, 0x7fc0
	v_cndmask_b32_sdwa v2, v3, v2, vcc dst_sel:DWORD dst_unused:UNUSED_PAD src0_sel:DWORD src1_sel:WORD_1
	global_store_dword v[0:1], v2, off
	s_mov_b64 s[0:1], 0
.LBB18_2014:
	s_mov_b64 s[8:9], 0
.LBB18_2015:
	s_and_b64 vcc, exec, s[8:9]
	s_cbranch_vccz .LBB18_2020
; %bb.2016:
	s_cmp_eq_u32 s16, 44
	s_mov_b64 s[0:1], -1
	s_cbranch_scc0 .LBB18_2020
; %bb.2017:
	v_bfe_u32 v2, v6, 23, 8
	s_movk_i32 s0, 0xff
	v_cmp_ne_u32_e32 vcc, s0, v2
	v_mov_b32_e32 v3, 0xff
	s_and_saveexec_b64 s[8:9], vcc
; %bb.2018:
	s_mov_b32 s0, 0x3fffff
	v_and_b32_e32 v4, 0x400000, v6
	v_and_or_b32 v2, v6, s0, v2
	v_cmp_ne_u32_e32 vcc, 0, v4
	v_cmp_ne_u32_e64 s[0:1], 0, v2
	s_and_b64 s[0:1], vcc, s[0:1]
	v_lshrrev_b32_e32 v3, 23, v6
	v_cndmask_b32_e64 v2, 0, 1, s[0:1]
	v_add_u32_e32 v3, v3, v2
; %bb.2019:
	s_or_b64 exec, exec, s[8:9]
	s_mov_b64 s[0:1], 0
	global_store_byte v[0:1], v3, off
.LBB18_2020:
	s_mov_b64 s[8:9], 0
.LBB18_2021:
	s_and_b64 vcc, exec, s[8:9]
	s_cbranch_vccz .LBB18_2024
; %bb.2022:
	s_cmp_eq_u32 s16, 29
	s_mov_b64 s[0:1], -1
	s_cbranch_scc0 .LBB18_2024
; %bb.2023:
	v_trunc_f32_e32 v2, v6
	v_mul_f32_e32 v3, 0x2f800000, v2
	v_floor_f32_e32 v4, v3
	v_fmac_f32_e32 v2, 0xcf800000, v4
	v_cvt_u32_f32_e32 v3, v4
	v_cvt_u32_f32_e32 v2, v2
	s_mov_b64 s[0:1], 0
	global_store_dwordx2 v[0:1], v[2:3], off
.LBB18_2024:
	s_mov_b64 s[8:9], 0
.LBB18_2025:
	s_and_b64 vcc, exec, s[8:9]
	s_cbranch_vccz .LBB18_2040
; %bb.2026:
	s_cmp_lt_i32 s16, 27
	s_mov_b64 s[8:9], -1
	s_cbranch_scc1 .LBB18_2032
; %bb.2027:
	v_cvt_u32_f32_e32 v2, v6
	s_cmp_gt_i32 s16, 27
	s_cbranch_scc0 .LBB18_2029
; %bb.2028:
	global_store_dword v[0:1], v2, off
	s_mov_b64 s[8:9], 0
.LBB18_2029:
	s_andn2_b64 vcc, exec, s[8:9]
	s_cbranch_vccnz .LBB18_2031
; %bb.2030:
	global_store_short v[0:1], v2, off
.LBB18_2031:
	s_mov_b64 s[8:9], 0
.LBB18_2032:
	s_andn2_b64 vcc, exec, s[8:9]
	s_cbranch_vccnz .LBB18_2040
; %bb.2033:
	v_and_b32_e32 v2, 0x7fffffff, v6
	s_mov_b32 s8, 0x43800000
	v_cmp_gt_u32_e32 vcc, s8, v2
	v_mov_b32_e32 v3, 0x80
	s_and_saveexec_b64 s[8:9], vcc
	s_cbranch_execz .LBB18_2039
; %bb.2034:
	s_mov_b32 s10, 0x3bffffff
	v_cmp_lt_u32_e32 vcc, s10, v2
	s_mov_b64 s[10:11], 0
                                        ; implicit-def: $vgpr2
	s_and_saveexec_b64 s[12:13], vcc
	s_xor_b64 s[12:13], exec, s[12:13]
	s_cbranch_execz .LBB18_2101
; %bb.2035:
	v_bfe_u32 v2, v6, 20, 1
	s_mov_b32 s17, 0x487ffff
	v_add3_u32 v2, v6, v2, s17
	s_mov_b64 s[10:11], exec
	v_lshrrev_b32_e32 v2, 20, v2
	s_andn2_saveexec_b64 s[12:13], s[12:13]
	s_cbranch_execnz .LBB18_2102
.LBB18_2036:
	s_or_b64 exec, exec, s[12:13]
	v_mov_b32_e32 v3, 0
	s_and_saveexec_b64 s[12:13], s[10:11]
.LBB18_2037:
	v_lshrrev_b32_e32 v3, 24, v6
	s_movk_i32 s10, 0x80
	v_and_or_b32 v3, v3, s10, v2
.LBB18_2038:
	s_or_b64 exec, exec, s[12:13]
.LBB18_2039:
	s_or_b64 exec, exec, s[8:9]
	global_store_byte v[0:1], v3, off
.LBB18_2040:
	s_mov_b64 s[8:9], 0
.LBB18_2041:
	s_and_b64 vcc, exec, s[8:9]
	s_cbranch_vccz .LBB18_2081
; %bb.2042:
	s_cmp_gt_i32 s16, 22
	s_mov_b64 s[2:3], -1
	s_cbranch_scc0 .LBB18_2074
; %bb.2043:
	s_cmp_lt_i32 s16, 24
	s_cbranch_scc1 .LBB18_2063
; %bb.2044:
	s_cmp_gt_i32 s16, 24
	s_cbranch_scc0 .LBB18_2052
; %bb.2045:
	v_and_b32_e32 v2, 0x7fffffff, v6
	s_mov_b32 s2, 0x47800000
	v_cmp_gt_u32_e32 vcc, s2, v2
	v_mov_b32_e32 v3, 0x80
	s_and_saveexec_b64 s[2:3], vcc
	s_cbranch_execz .LBB18_2051
; %bb.2046:
	s_mov_b32 s8, 0x37ffffff
	v_cmp_lt_u32_e32 vcc, s8, v2
	s_mov_b64 s[8:9], 0
                                        ; implicit-def: $vgpr2
	s_and_saveexec_b64 s[10:11], vcc
	s_xor_b64 s[10:11], exec, s[10:11]
	s_cbranch_execz .LBB18_2104
; %bb.2047:
	v_bfe_u32 v2, v6, 21, 1
	s_mov_b32 s12, 0x88fffff
	v_add3_u32 v2, v6, v2, s12
	s_mov_b64 s[8:9], exec
	v_lshrrev_b32_e32 v2, 21, v2
	s_andn2_saveexec_b64 s[10:11], s[10:11]
	s_cbranch_execnz .LBB18_2105
.LBB18_2048:
	s_or_b64 exec, exec, s[10:11]
	v_mov_b32_e32 v3, 0
	s_and_saveexec_b64 s[10:11], s[8:9]
.LBB18_2049:
	v_lshrrev_b32_e32 v3, 24, v6
	s_movk_i32 s8, 0x80
	v_and_or_b32 v3, v3, s8, v2
.LBB18_2050:
	s_or_b64 exec, exec, s[10:11]
.LBB18_2051:
	s_or_b64 exec, exec, s[2:3]
	s_mov_b64 s[2:3], 0
	global_store_byte v[0:1], v3, off
.LBB18_2052:
	s_and_b64 vcc, exec, s[2:3]
	s_cbranch_vccz .LBB18_2062
; %bb.2053:
	v_and_b32_e32 v3, 0x7fffffff, v6
	s_mov_b32 s2, 0x43f00000
	v_cmp_gt_u32_e32 vcc, s2, v3
                                        ; implicit-def: $vgpr2
	s_and_saveexec_b64 s[2:3], vcc
	s_xor_b64 s[2:3], exec, s[2:3]
	s_cbranch_execz .LBB18_2059
; %bb.2054:
	s_mov_b32 s8, 0x3c7fffff
	v_cmp_lt_u32_e32 vcc, s8, v3
                                        ; implicit-def: $vgpr2
	s_and_saveexec_b64 s[8:9], vcc
	s_xor_b64 s[8:9], exec, s[8:9]
; %bb.2055:
	v_bfe_u32 v2, v6, 20, 1
	s_mov_b32 s10, 0x407ffff
	v_add3_u32 v2, v6, v2, s10
	v_lshrrev_b32_e32 v3, 20, v2
	v_and_b32_e32 v2, 0xff00000, v2
	s_mov_b32 s10, 0x7f00000
	v_mov_b32_e32 v4, 0x7e
	v_cmp_ne_u32_e32 vcc, s10, v2
	v_cndmask_b32_e32 v2, v4, v3, vcc
; %bb.2056:
	s_andn2_saveexec_b64 s[8:9], s[8:9]
; %bb.2057:
	s_mov_b32 s10, 0x46800000
	v_add_f32_e64 v2, |v6|, s10
; %bb.2058:
	s_or_b64 exec, exec, s[8:9]
                                        ; implicit-def: $vgpr3
.LBB18_2059:
	s_andn2_saveexec_b64 s[2:3], s[2:3]
; %bb.2060:
	s_mov_b32 s8, 0x7f800000
	v_mov_b32_e32 v2, 0x7e
	v_mov_b32_e32 v4, 0x7f
	v_cmp_lt_u32_e32 vcc, s8, v3
	v_cndmask_b32_e32 v2, v2, v4, vcc
; %bb.2061:
	s_or_b64 exec, exec, s[2:3]
	v_lshrrev_b32_e32 v3, 24, v6
	s_movk_i32 s2, 0x80
	v_and_or_b32 v2, v3, s2, v2
	global_store_byte v[0:1], v2, off
.LBB18_2062:
	s_mov_b64 s[2:3], 0
.LBB18_2063:
	s_andn2_b64 vcc, exec, s[2:3]
	s_cbranch_vccnz .LBB18_2073
; %bb.2064:
	v_and_b32_e32 v3, 0x7fffffff, v6
	s_mov_b32 s2, 0x47800000
	v_cmp_gt_u32_e32 vcc, s2, v3
                                        ; implicit-def: $vgpr2
	s_and_saveexec_b64 s[2:3], vcc
	s_xor_b64 s[2:3], exec, s[2:3]
	s_cbranch_execz .LBB18_2070
; %bb.2065:
	s_mov_b32 s8, 0x387fffff
	v_cmp_lt_u32_e32 vcc, s8, v3
                                        ; implicit-def: $vgpr2
	s_and_saveexec_b64 s[8:9], vcc
	s_xor_b64 s[8:9], exec, s[8:9]
; %bb.2066:
	v_bfe_u32 v2, v6, 21, 1
	s_mov_b32 s10, 0x80fffff
	v_add3_u32 v2, v6, v2, s10
	v_lshrrev_b32_e32 v2, 21, v2
; %bb.2067:
	s_andn2_saveexec_b64 s[8:9], s[8:9]
; %bb.2068:
	s_mov_b32 s10, 0x43000000
	v_add_f32_e64 v2, |v6|, s10
; %bb.2069:
	s_or_b64 exec, exec, s[8:9]
                                        ; implicit-def: $vgpr3
.LBB18_2070:
	s_andn2_saveexec_b64 s[2:3], s[2:3]
; %bb.2071:
	s_mov_b32 s8, 0x7f800000
	v_mov_b32_e32 v2, 0x7c
	v_mov_b32_e32 v4, 0x7f
	v_cmp_lt_u32_e32 vcc, s8, v3
	v_cndmask_b32_e32 v2, v2, v4, vcc
; %bb.2072:
	s_or_b64 exec, exec, s[2:3]
	v_lshrrev_b32_e32 v3, 24, v6
	s_movk_i32 s2, 0x80
	v_and_or_b32 v2, v3, s2, v2
	global_store_byte v[0:1], v2, off
.LBB18_2073:
	s_mov_b64 s[2:3], 0
.LBB18_2074:
	s_andn2_b64 vcc, exec, s[2:3]
	s_mov_b64 s[2:3], 0
	s_cbranch_vccnz .LBB18_2081
; %bb.2075:
	s_cmp_gt_i32 s16, 14
	s_mov_b64 s[8:9], -1
	s_cbranch_scc0 .LBB18_2079
; %bb.2076:
	s_cmp_eq_u32 s16, 15
	s_mov_b64 s[0:1], -1
	s_cbranch_scc0 .LBB18_2078
; %bb.2077:
	v_bfe_u32 v2, v6, 16, 1
	s_movk_i32 s0, 0x7fff
	v_add3_u32 v2, v6, v2, s0
	v_cmp_o_f32_e32 vcc, v6, v6
	v_mov_b32_e32 v3, 0x7fc0
	v_cndmask_b32_sdwa v2, v3, v2, vcc dst_sel:DWORD dst_unused:UNUSED_PAD src0_sel:DWORD src1_sel:WORD_1
	global_store_short v[0:1], v2, off
	s_mov_b64 s[0:1], 0
.LBB18_2078:
	s_mov_b64 s[8:9], 0
.LBB18_2079:
	s_and_b64 vcc, exec, s[8:9]
	s_cbranch_vccz .LBB18_2081
; %bb.2080:
	s_cmp_lg_u32 s16, 11
	s_mov_b64 s[2:3], -1
	s_cselect_b64 s[0:1], -1, 0
.LBB18_2081:
	s_and_b64 vcc, exec, s[0:1]
	s_cbranch_vccnz .LBB18_2103
.LBB18_2082:
	s_mov_b64 s[0:1], 0
	s_branch .LBB18_1684
.LBB18_2083:
	s_mov_b64 s[0:1], 0
                                        ; implicit-def: $sgpr20
                                        ; implicit-def: $vgpr0_vgpr1
	s_branch .LBB18_1683
.LBB18_2084:
	s_mov_b64 s[2:3], 0
	s_mov_b64 s[0:1], -1
	s_branch .LBB18_1684
.LBB18_2085:
	s_trap 2
	s_or_b64 s[14:15], s[14:15], exec
	s_cbranch_execz .LBB18_1544
	s_branch .LBB18_1545
.LBB18_2086:
	s_andn2_saveexec_b64 s[18:19], s[18:19]
	s_cbranch_execz .LBB18_1632
.LBB18_2087:
	s_mov_b32 s21, 0x46000000
	v_add_f32_e64 v1, |v0|, s21
	v_and_b32_e32 v1, 0xff, v1
	v_cmp_ne_u32_e32 vcc, 0, v1
	s_andn2_b64 s[16:17], s[16:17], exec
	s_and_b64 s[22:23], vcc, exec
	s_or_b64 s[16:17], s[16:17], s[22:23]
	s_or_b64 exec, exec, s[18:19]
	v_mov_b32_e32 v5, 0
	s_and_saveexec_b64 s[18:19], s[16:17]
	s_cbranch_execnz .LBB18_1633
	s_branch .LBB18_1634
.LBB18_2088:
	s_trap 2
	s_or_b64 s[14:15], s[14:15], exec
	s_cbranch_execz .LBB18_1680
	s_branch .LBB18_1681
.LBB18_2089:
	s_andn2_saveexec_b64 s[16:17], s[16:17]
	s_cbranch_execz .LBB18_1645
.LBB18_2090:
	s_mov_b32 s18, 0x42800000
	v_add_f32_e64 v1, |v0|, s18
	v_and_b32_e32 v1, 0xff, v1
	v_cmp_ne_u32_e32 vcc, 0, v1
	s_andn2_b64 s[12:13], s[12:13], exec
	s_and_b64 s[18:19], vcc, exec
	s_or_b64 s[12:13], s[12:13], s[18:19]
	s_or_b64 exec, exec, s[16:17]
	v_mov_b32_e32 v5, 0
	s_and_saveexec_b64 s[16:17], s[12:13]
	s_cbranch_execnz .LBB18_1646
	s_branch .LBB18_1647
.LBB18_2091:
	s_andn2_saveexec_b64 s[16:17], s[16:17]
	s_cbranch_execz .LBB18_1797
.LBB18_2092:
	s_mov_b32 s21, 0x46000000
	v_add_f32_e64 v3, |v2|, s21
	v_and_b32_e32 v3, 0xff, v3
	v_cmp_ne_u32_e32 vcc, 0, v3
	s_andn2_b64 s[12:13], s[12:13], exec
	s_and_b64 s[22:23], vcc, exec
	s_or_b64 s[12:13], s[12:13], s[22:23]
	s_or_b64 exec, exec, s[16:17]
	v_mov_b32_e32 v7, 0
	s_and_saveexec_b64 s[16:17], s[12:13]
	s_cbranch_execnz .LBB18_1798
	s_branch .LBB18_1799
.LBB18_2093:
	s_trap 2
	s_or_b64 s[14:15], s[14:15], exec
	s_cbranch_execz .LBB18_1845
	s_branch .LBB18_1846
.LBB18_2094:
	s_andn2_saveexec_b64 s[12:13], s[12:13]
	s_cbranch_execz .LBB18_1810
.LBB18_2095:
	s_mov_b32 s16, 0x42800000
	v_add_f32_e64 v3, |v2|, s16
	v_and_b32_e32 v3, 0xff, v3
	v_cmp_ne_u32_e32 vcc, 0, v3
	s_andn2_b64 s[10:11], s[10:11], exec
	s_and_b64 s[16:17], vcc, exec
	s_or_b64 s[10:11], s[10:11], s[16:17]
	s_or_b64 exec, exec, s[12:13]
	v_mov_b32_e32 v7, 0
	s_and_saveexec_b64 s[12:13], s[10:11]
	s_cbranch_execnz .LBB18_1811
	s_branch .LBB18_1812
.LBB18_2096:
	s_andn2_saveexec_b64 s[16:17], s[16:17]
	s_cbranch_execz .LBB18_1916
.LBB18_2097:
	s_mov_b32 s21, 0x46000000
	v_add_f32_e64 v3, |v4|, s21
	v_and_b32_e32 v3, 0xff, v3
	v_cmp_ne_u32_e32 vcc, 0, v3
	s_andn2_b64 s[12:13], s[12:13], exec
	s_and_b64 s[22:23], vcc, exec
	s_or_b64 s[12:13], s[12:13], s[22:23]
	s_or_b64 exec, exec, s[16:17]
	v_mov_b32_e32 v5, 0
	s_and_saveexec_b64 s[16:17], s[12:13]
	s_cbranch_execnz .LBB18_1917
	s_branch .LBB18_1918
.LBB18_2098:
	s_trap 2
	s_or_b64 s[14:15], s[14:15], exec
	s_cbranch_execz .LBB18_1964
	s_branch .LBB18_1965
.LBB18_2099:
	s_andn2_saveexec_b64 s[12:13], s[12:13]
	s_cbranch_execz .LBB18_1929
.LBB18_2100:
	s_mov_b32 s16, 0x42800000
	v_add_f32_e64 v3, |v4|, s16
	v_and_b32_e32 v3, 0xff, v3
	v_cmp_ne_u32_e32 vcc, 0, v3
	s_andn2_b64 s[10:11], s[10:11], exec
	s_and_b64 s[16:17], vcc, exec
	s_or_b64 s[10:11], s[10:11], s[16:17]
	s_or_b64 exec, exec, s[12:13]
	v_mov_b32_e32 v5, 0
	s_and_saveexec_b64 s[12:13], s[10:11]
	s_cbranch_execnz .LBB18_1930
	s_branch .LBB18_1931
.LBB18_2101:
	s_andn2_saveexec_b64 s[12:13], s[12:13]
	s_cbranch_execz .LBB18_2036
.LBB18_2102:
	s_mov_b32 s17, 0x46000000
	v_add_f32_e64 v2, |v6|, s17
	v_and_b32_e32 v2, 0xff, v2
	v_cmp_ne_u32_e32 vcc, 0, v2
	s_andn2_b64 s[10:11], s[10:11], exec
	s_and_b64 s[18:19], vcc, exec
	s_or_b64 s[10:11], s[10:11], s[18:19]
	s_or_b64 exec, exec, s[12:13]
	v_mov_b32_e32 v3, 0
	s_and_saveexec_b64 s[12:13], s[10:11]
	s_cbranch_execnz .LBB18_2037
	s_branch .LBB18_2038
.LBB18_2103:
	s_mov_b64 s[2:3], 0
	s_or_b64 s[14:15], s[14:15], exec
	s_trap 2
	s_branch .LBB18_2082
.LBB18_2104:
	s_andn2_saveexec_b64 s[10:11], s[10:11]
	s_cbranch_execz .LBB18_2048
.LBB18_2105:
	s_mov_b32 s12, 0x42800000
	v_add_f32_e64 v2, |v6|, s12
	v_and_b32_e32 v2, 0xff, v2
	v_cmp_ne_u32_e32 vcc, 0, v2
	s_andn2_b64 s[8:9], s[8:9], exec
	s_and_b64 s[12:13], vcc, exec
	s_or_b64 s[8:9], s[8:9], s[12:13]
	s_or_b64 exec, exec, s[10:11]
	v_mov_b32_e32 v3, 0
	s_and_saveexec_b64 s[10:11], s[8:9]
	s_cbranch_execnz .LBB18_2049
	s_branch .LBB18_2050
	.section	.rodata,"a",@progbits
	.p2align	6, 0x0
	.amdhsa_kernel _ZN2at6native32elementwise_kernel_manual_unrollILi128ELi4EZNS0_15gpu_kernel_implIZZZNS0_12_GLOBAL__N_137scaled_modified_bessel_k0_kernel_cudaERNS_18TensorIteratorBaseEENKUlvE_clEvENKUlvE0_clEvEUlfE_EEvS5_RKT_EUlibE_EEviT1_
		.amdhsa_group_segment_fixed_size 0
		.amdhsa_private_segment_fixed_size 0
		.amdhsa_kernarg_size 40
		.amdhsa_user_sgpr_count 6
		.amdhsa_user_sgpr_private_segment_buffer 1
		.amdhsa_user_sgpr_dispatch_ptr 0
		.amdhsa_user_sgpr_queue_ptr 0
		.amdhsa_user_sgpr_kernarg_segment_ptr 1
		.amdhsa_user_sgpr_dispatch_id 0
		.amdhsa_user_sgpr_flat_scratch_init 0
		.amdhsa_user_sgpr_private_segment_size 0
		.amdhsa_uses_dynamic_stack 0
		.amdhsa_system_sgpr_private_segment_wavefront_offset 0
		.amdhsa_system_sgpr_workgroup_id_x 1
		.amdhsa_system_sgpr_workgroup_id_y 0
		.amdhsa_system_sgpr_workgroup_id_z 0
		.amdhsa_system_sgpr_workgroup_info 0
		.amdhsa_system_vgpr_workitem_id 0
		.amdhsa_next_free_vgpr 15
		.amdhsa_next_free_sgpr 44
		.amdhsa_reserve_vcc 1
		.amdhsa_reserve_flat_scratch 0
		.amdhsa_float_round_mode_32 0
		.amdhsa_float_round_mode_16_64 0
		.amdhsa_float_denorm_mode_32 3
		.amdhsa_float_denorm_mode_16_64 3
		.amdhsa_dx10_clamp 1
		.amdhsa_ieee_mode 1
		.amdhsa_fp16_overflow 0
		.amdhsa_exception_fp_ieee_invalid_op 0
		.amdhsa_exception_fp_denorm_src 0
		.amdhsa_exception_fp_ieee_div_zero 0
		.amdhsa_exception_fp_ieee_overflow 0
		.amdhsa_exception_fp_ieee_underflow 0
		.amdhsa_exception_fp_ieee_inexact 0
		.amdhsa_exception_int_div_zero 0
	.end_amdhsa_kernel
	.section	.text._ZN2at6native32elementwise_kernel_manual_unrollILi128ELi4EZNS0_15gpu_kernel_implIZZZNS0_12_GLOBAL__N_137scaled_modified_bessel_k0_kernel_cudaERNS_18TensorIteratorBaseEENKUlvE_clEvENKUlvE0_clEvEUlfE_EEvS5_RKT_EUlibE_EEviT1_,"axG",@progbits,_ZN2at6native32elementwise_kernel_manual_unrollILi128ELi4EZNS0_15gpu_kernel_implIZZZNS0_12_GLOBAL__N_137scaled_modified_bessel_k0_kernel_cudaERNS_18TensorIteratorBaseEENKUlvE_clEvENKUlvE0_clEvEUlfE_EEvS5_RKT_EUlibE_EEviT1_,comdat
.Lfunc_end18:
	.size	_ZN2at6native32elementwise_kernel_manual_unrollILi128ELi4EZNS0_15gpu_kernel_implIZZZNS0_12_GLOBAL__N_137scaled_modified_bessel_k0_kernel_cudaERNS_18TensorIteratorBaseEENKUlvE_clEvENKUlvE0_clEvEUlfE_EEvS5_RKT_EUlibE_EEviT1_, .Lfunc_end18-_ZN2at6native32elementwise_kernel_manual_unrollILi128ELi4EZNS0_15gpu_kernel_implIZZZNS0_12_GLOBAL__N_137scaled_modified_bessel_k0_kernel_cudaERNS_18TensorIteratorBaseEENKUlvE_clEvENKUlvE0_clEvEUlfE_EEvS5_RKT_EUlibE_EEviT1_
                                        ; -- End function
	.set _ZN2at6native32elementwise_kernel_manual_unrollILi128ELi4EZNS0_15gpu_kernel_implIZZZNS0_12_GLOBAL__N_137scaled_modified_bessel_k0_kernel_cudaERNS_18TensorIteratorBaseEENKUlvE_clEvENKUlvE0_clEvEUlfE_EEvS5_RKT_EUlibE_EEviT1_.num_vgpr, 15
	.set _ZN2at6native32elementwise_kernel_manual_unrollILi128ELi4EZNS0_15gpu_kernel_implIZZZNS0_12_GLOBAL__N_137scaled_modified_bessel_k0_kernel_cudaERNS_18TensorIteratorBaseEENKUlvE_clEvENKUlvE0_clEvEUlfE_EEvS5_RKT_EUlibE_EEviT1_.num_agpr, 0
	.set _ZN2at6native32elementwise_kernel_manual_unrollILi128ELi4EZNS0_15gpu_kernel_implIZZZNS0_12_GLOBAL__N_137scaled_modified_bessel_k0_kernel_cudaERNS_18TensorIteratorBaseEENKUlvE_clEvENKUlvE0_clEvEUlfE_EEvS5_RKT_EUlibE_EEviT1_.numbered_sgpr, 44
	.set _ZN2at6native32elementwise_kernel_manual_unrollILi128ELi4EZNS0_15gpu_kernel_implIZZZNS0_12_GLOBAL__N_137scaled_modified_bessel_k0_kernel_cudaERNS_18TensorIteratorBaseEENKUlvE_clEvENKUlvE0_clEvEUlfE_EEvS5_RKT_EUlibE_EEviT1_.num_named_barrier, 0
	.set _ZN2at6native32elementwise_kernel_manual_unrollILi128ELi4EZNS0_15gpu_kernel_implIZZZNS0_12_GLOBAL__N_137scaled_modified_bessel_k0_kernel_cudaERNS_18TensorIteratorBaseEENKUlvE_clEvENKUlvE0_clEvEUlfE_EEvS5_RKT_EUlibE_EEviT1_.private_seg_size, 0
	.set _ZN2at6native32elementwise_kernel_manual_unrollILi128ELi4EZNS0_15gpu_kernel_implIZZZNS0_12_GLOBAL__N_137scaled_modified_bessel_k0_kernel_cudaERNS_18TensorIteratorBaseEENKUlvE_clEvENKUlvE0_clEvEUlfE_EEvS5_RKT_EUlibE_EEviT1_.uses_vcc, 1
	.set _ZN2at6native32elementwise_kernel_manual_unrollILi128ELi4EZNS0_15gpu_kernel_implIZZZNS0_12_GLOBAL__N_137scaled_modified_bessel_k0_kernel_cudaERNS_18TensorIteratorBaseEENKUlvE_clEvENKUlvE0_clEvEUlfE_EEvS5_RKT_EUlibE_EEviT1_.uses_flat_scratch, 0
	.set _ZN2at6native32elementwise_kernel_manual_unrollILi128ELi4EZNS0_15gpu_kernel_implIZZZNS0_12_GLOBAL__N_137scaled_modified_bessel_k0_kernel_cudaERNS_18TensorIteratorBaseEENKUlvE_clEvENKUlvE0_clEvEUlfE_EEvS5_RKT_EUlibE_EEviT1_.has_dyn_sized_stack, 0
	.set _ZN2at6native32elementwise_kernel_manual_unrollILi128ELi4EZNS0_15gpu_kernel_implIZZZNS0_12_GLOBAL__N_137scaled_modified_bessel_k0_kernel_cudaERNS_18TensorIteratorBaseEENKUlvE_clEvENKUlvE0_clEvEUlfE_EEvS5_RKT_EUlibE_EEviT1_.has_recursion, 0
	.set _ZN2at6native32elementwise_kernel_manual_unrollILi128ELi4EZNS0_15gpu_kernel_implIZZZNS0_12_GLOBAL__N_137scaled_modified_bessel_k0_kernel_cudaERNS_18TensorIteratorBaseEENKUlvE_clEvENKUlvE0_clEvEUlfE_EEvS5_RKT_EUlibE_EEviT1_.has_indirect_call, 0
	.section	.AMDGPU.csdata,"",@progbits
; Kernel info:
; codeLenInByte = 45136
; TotalNumSgprs: 48
; NumVgprs: 15
; ScratchSize: 0
; MemoryBound: 1
; FloatMode: 240
; IeeeMode: 1
; LDSByteSize: 0 bytes/workgroup (compile time only)
; SGPRBlocks: 5
; VGPRBlocks: 3
; NumSGPRsForWavesPerEU: 48
; NumVGPRsForWavesPerEU: 15
; Occupancy: 10
; WaveLimiterHint : 0
; COMPUTE_PGM_RSRC2:SCRATCH_EN: 0
; COMPUTE_PGM_RSRC2:USER_SGPR: 6
; COMPUTE_PGM_RSRC2:TRAP_HANDLER: 0
; COMPUTE_PGM_RSRC2:TGID_X_EN: 1
; COMPUTE_PGM_RSRC2:TGID_Y_EN: 0
; COMPUTE_PGM_RSRC2:TGID_Z_EN: 0
; COMPUTE_PGM_RSRC2:TIDIG_COMP_CNT: 0
	.section	.text._ZN2at6native32elementwise_kernel_manual_unrollILi128ELi4EZNS0_15gpu_kernel_implIZZZNS0_12_GLOBAL__N_137scaled_modified_bessel_k0_kernel_cudaERNS_18TensorIteratorBaseEENKUlvE_clEvENKUlvE0_clEvEUlfE_EEvS5_RKT_EUlibE0_EEviT1_,"axG",@progbits,_ZN2at6native32elementwise_kernel_manual_unrollILi128ELi4EZNS0_15gpu_kernel_implIZZZNS0_12_GLOBAL__N_137scaled_modified_bessel_k0_kernel_cudaERNS_18TensorIteratorBaseEENKUlvE_clEvENKUlvE0_clEvEUlfE_EEvS5_RKT_EUlibE0_EEviT1_,comdat
	.globl	_ZN2at6native32elementwise_kernel_manual_unrollILi128ELi4EZNS0_15gpu_kernel_implIZZZNS0_12_GLOBAL__N_137scaled_modified_bessel_k0_kernel_cudaERNS_18TensorIteratorBaseEENKUlvE_clEvENKUlvE0_clEvEUlfE_EEvS5_RKT_EUlibE0_EEviT1_ ; -- Begin function _ZN2at6native32elementwise_kernel_manual_unrollILi128ELi4EZNS0_15gpu_kernel_implIZZZNS0_12_GLOBAL__N_137scaled_modified_bessel_k0_kernel_cudaERNS_18TensorIteratorBaseEENKUlvE_clEvENKUlvE0_clEvEUlfE_EEvS5_RKT_EUlibE0_EEviT1_
	.p2align	8
	.type	_ZN2at6native32elementwise_kernel_manual_unrollILi128ELi4EZNS0_15gpu_kernel_implIZZZNS0_12_GLOBAL__N_137scaled_modified_bessel_k0_kernel_cudaERNS_18TensorIteratorBaseEENKUlvE_clEvENKUlvE0_clEvEUlfE_EEvS5_RKT_EUlibE0_EEviT1_,@function
_ZN2at6native32elementwise_kernel_manual_unrollILi128ELi4EZNS0_15gpu_kernel_implIZZZNS0_12_GLOBAL__N_137scaled_modified_bessel_k0_kernel_cudaERNS_18TensorIteratorBaseEENKUlvE_clEvENKUlvE0_clEvEUlfE_EEvS5_RKT_EUlibE0_EEviT1_: ; @_ZN2at6native32elementwise_kernel_manual_unrollILi128ELi4EZNS0_15gpu_kernel_implIZZZNS0_12_GLOBAL__N_137scaled_modified_bessel_k0_kernel_cudaERNS_18TensorIteratorBaseEENKUlvE_clEvENKUlvE0_clEvEUlfE_EEvS5_RKT_EUlibE0_EEviT1_
; %bb.0:
	s_load_dword s70, s[4:5], 0x0
	s_load_dword s33, s[4:5], 0x8
	s_add_u32 s34, s4, 8
	s_addc_u32 s35, s5, 0
	v_lshl_or_b32 v8, s6, 9, v0
	v_or_b32_e32 v15, 0x180, v8
	s_waitcnt lgkmcnt(0)
	s_add_i32 s72, s33, -1
	s_cmp_gt_u32 s72, 1
	v_cmp_le_i32_e32 vcc, s70, v15
	s_cselect_b64 s[40:41], -1, 0
	s_mov_b64 s[6:7], 0
	s_mov_b64 s[28:29], 0
	s_and_saveexec_b64 s[0:1], vcc
	s_xor_b64 s[42:43], exec, s[0:1]
	s_cbranch_execz .LBB19_1118
; %bb.1:
	v_mov_b32_e32 v0, 0
	global_load_ushort v0, v0, s[34:35] offset:345
	s_load_dwordx4 s[36:39], s[34:35], 0x4
	s_load_dwordx2 s[44:45], s[34:35], 0x14
	s_load_dwordx4 s[28:31], s[34:35], 0xc4
	s_load_dwordx4 s[24:27], s[34:35], 0x148
	s_cmp_lg_u32 s33, 0
	s_cselect_b64 s[50:51], -1, 0
	s_add_u32 s48, s34, 0xc4
	s_addc_u32 s49, s35, 0
	s_min_u32 s75, s72, 15
	s_cmp_gt_u32 s33, 1
	s_cselect_b64 s[46:47], -1, 0
	v_cmp_gt_i32_e32 vcc, s70, v8
	s_mov_b64 s[2:3], -1
	s_mov_b64 s[60:61], 0
	s_mov_b64 s[54:55], 0
	;; [unrolled: 1-line block ×3, first 2 shown]
	s_waitcnt vmcnt(0)
	v_readfirstlane_b32 s73, v0
	s_and_b32 s0, 0xffff, s73
	s_lshr_b32 s74, s0, 8
	s_and_saveexec_b64 s[56:57], vcc
	s_cbranch_execz .LBB19_274
; %bb.2:
	s_andn2_b64 vcc, exec, s[40:41]
	s_cbranch_vccnz .LBB19_7
; %bb.3:
	s_andn2_b64 vcc, exec, s[50:51]
	s_cbranch_vccnz .LBB19_8
; %bb.4:
	s_add_i32 s59, s75, 1
	s_cmp_eq_u32 s72, 2
	s_cbranch_scc1 .LBB19_9
; %bb.5:
	s_and_b32 s58, s59, 28
	v_mov_b32_e32 v2, 0
	s_mov_b32 s62, 0
	s_mov_b64 s[52:53], s[34:35]
	s_mov_b64 s[54:55], s[48:49]
	v_mov_b32_e32 v0, 0
	v_mov_b32_e32 v1, v8
.LBB19_6:                               ; =>This Inner Loop Header: Depth=1
	s_load_dwordx8 s[16:23], s[52:53], 0x4
	s_load_dwordx4 s[0:3], s[52:53], 0x24
	s_load_dwordx8 s[8:15], s[54:55], 0x0
	s_add_u32 s52, s52, 48
	s_addc_u32 s53, s53, 0
	s_waitcnt lgkmcnt(0)
	v_mul_hi_u32 v3, s17, v1
	s_add_i32 s62, s62, 4
	s_add_u32 s54, s54, 32
	s_addc_u32 s55, s55, 0
	v_add_u32_e32 v3, v1, v3
	v_lshrrev_b32_e32 v3, s18, v3
	v_mul_lo_u32 v4, v3, s16
	v_mul_hi_u32 v5, s20, v3
	s_cmp_lg_u32 s58, s62
	v_sub_u32_e32 v1, v1, v4
	v_add_u32_e32 v4, v3, v5
	v_mul_lo_u32 v5, v1, s8
	v_mul_lo_u32 v6, v1, s9
	v_lshrrev_b32_e32 v1, s21, v4
	v_mul_lo_u32 v4, v1, s19
	v_mul_hi_u32 v7, s23, v1
	v_sub_u32_e32 v3, v3, v4
	v_add_u32_e32 v4, v1, v7
	v_lshrrev_b32_e32 v4, s0, v4
	v_mul_hi_u32 v9, s2, v4
	v_mul_lo_u32 v10, v4, s22
	v_mul_lo_u32 v7, v3, s10
	;; [unrolled: 1-line block ×3, first 2 shown]
	v_sub_u32_e32 v10, v1, v10
	v_add_u32_e32 v1, v4, v9
	v_lshrrev_b32_e32 v1, s3, v1
	v_mul_lo_u32 v9, v1, s1
	v_mul_lo_u32 v11, v10, s12
	;; [unrolled: 1-line block ×3, first 2 shown]
	v_add3_u32 v0, v5, v0, v7
	v_sub_u32_e32 v4, v4, v9
	v_mul_lo_u32 v9, v4, s14
	v_mul_lo_u32 v4, v4, s15
	v_add3_u32 v2, v6, v2, v3
	v_add3_u32 v0, v11, v0, v9
	;; [unrolled: 1-line block ×3, first 2 shown]
	s_cbranch_scc1 .LBB19_6
	s_branch .LBB19_10
.LBB19_7:
                                        ; implicit-def: $vgpr0
                                        ; implicit-def: $vgpr2
	s_branch .LBB19_14
.LBB19_8:
	v_mov_b32_e32 v0, 0
	v_mov_b32_e32 v2, 0
	s_branch .LBB19_13
.LBB19_9:
	s_mov_b32 s58, 0
	v_mov_b32_e32 v0, 0
	v_mov_b32_e32 v2, 0
	;; [unrolled: 1-line block ×3, first 2 shown]
.LBB19_10:
	s_and_b32 s8, s59, 3
	s_cmp_eq_u32 s8, 0
	s_cbranch_scc1 .LBB19_13
; %bb.11:
	s_lshl_b32 s0, s58, 3
	s_add_u32 s0, s34, s0
	s_addc_u32 s1, s35, 0
	s_add_u32 s0, s0, 0xc4
	s_addc_u32 s1, s1, 0
	s_mul_i32 s2, s58, 12
	s_add_u32 s2, s34, s2
	s_addc_u32 s3, s35, 0
.LBB19_12:                              ; =>This Inner Loop Header: Depth=1
	s_load_dwordx2 s[10:11], s[2:3], 0x4
	s_load_dword s9, s[2:3], 0xc
	s_load_dwordx2 s[12:13], s[0:1], 0x0
	s_add_u32 s2, s2, 12
	s_addc_u32 s3, s3, 0
	s_waitcnt lgkmcnt(0)
	v_mul_hi_u32 v3, s11, v1
	s_add_u32 s0, s0, 8
	s_addc_u32 s1, s1, 0
	s_add_i32 s8, s8, -1
	v_add_u32_e32 v3, v1, v3
	v_lshrrev_b32_e32 v4, s9, v3
	v_mul_lo_u32 v3, v4, s10
	s_cmp_lg_u32 s8, 0
	v_sub_u32_e32 v3, v1, v3
	v_mad_u64_u32 v[0:1], s[10:11], v3, s12, v[0:1]
	v_mad_u64_u32 v[2:3], s[10:11], v3, s13, v[2:3]
	v_mov_b32_e32 v1, v4
	s_cbranch_scc1 .LBB19_12
.LBB19_13:
	s_cbranch_execnz .LBB19_16
.LBB19_14:
	s_waitcnt lgkmcnt(0)
	v_mul_hi_u32 v0, s37, v8
	s_andn2_b64 vcc, exec, s[46:47]
	v_add_u32_e32 v0, v8, v0
	v_lshrrev_b32_e32 v1, s38, v0
	v_mul_lo_u32 v0, v1, s36
	v_sub_u32_e32 v2, v8, v0
	v_mul_lo_u32 v0, v2, s28
	v_mul_lo_u32 v2, v2, s29
	s_cbranch_vccnz .LBB19_16
; %bb.15:
	v_mul_hi_u32 v3, s44, v1
	v_add_u32_e32 v3, v1, v3
	v_lshrrev_b32_e32 v3, s45, v3
	v_mul_lo_u32 v3, v3, s39
	v_sub_u32_e32 v3, v1, v3
	v_mad_u64_u32 v[0:1], s[0:1], v3, s30, v[0:1]
	v_mad_u64_u32 v[2:3], s[0:1], v3, s31, v[2:3]
.LBB19_16:
	s_waitcnt lgkmcnt(0)
	v_mov_b32_e32 v3, s27
	s_and_b32 s12, 0xffff, s74
	v_add_co_u32_e32 v1, vcc, s26, v2
	s_cmp_lt_i32 s12, 11
	v_addc_co_u32_e32 v2, vcc, 0, v3, vcc
	s_cbranch_scc1 .LBB19_23
; %bb.17:
	s_cmp_gt_i32 s12, 25
	s_cbranch_scc0 .LBB19_40
; %bb.18:
	s_cmp_gt_i32 s12, 28
	s_cbranch_scc0 .LBB19_43
	;; [unrolled: 3-line block ×4, first 2 shown]
; %bb.21:
	s_cmp_eq_u32 s12, 46
	s_mov_b64 s[8:9], 0
	s_cbranch_scc0 .LBB19_49
; %bb.22:
	global_load_dword v3, v[1:2], off
	s_mov_b64 s[0:1], -1
	s_mov_b64 s[2:3], 0
	s_waitcnt vmcnt(0)
	v_lshlrev_b32_e32 v3, 16, v3
	s_branch .LBB19_51
.LBB19_23:
	s_mov_b64 s[2:3], 0
                                        ; implicit-def: $vgpr3
	s_mov_b64 s[0:1], 0
	s_cbranch_execnz .LBB19_224
.LBB19_24:
	s_andn2_b64 vcc, exec, s[0:1]
	s_cbranch_vccnz .LBB19_271
.LBB19_25:
	s_waitcnt vmcnt(0)
	v_cmp_neq_f32_e32 vcc, 0, v3
	v_mov_b32_e32 v1, 0x7f800000
	s_and_saveexec_b64 s[8:9], vcc
	s_cbranch_execz .LBB19_33
; %bb.26:
	v_cmp_ngt_f32_e32 vcc, 0, v3
	v_mov_b32_e32 v1, 0x7fc00000
	s_and_saveexec_b64 s[10:11], vcc
	s_cbranch_execz .LBB19_32
; %bb.27:
	v_cmp_ge_f32_e32 vcc, 2.0, v3
                                        ; implicit-def: $vgpr1
	s_and_saveexec_b64 s[0:1], vcc
	s_xor_b64 s[12:13], exec, s[0:1]
	s_cbranch_execz .LBB19_29
; %bb.28:
	v_fma_f32 v1, v3, v3, -2.0
	v_mov_b32_e32 v2, 0x293fd856
	v_fmac_f32_e32 v2, 0x251e770f, v1
	v_mov_b32_e32 v4, 0xa51e770f
	v_fmac_f32_e32 v4, v1, v2
	v_add_f32_e32 v4, 0x2d3612e2, v4
	v_fma_f32 v2, v1, v4, -v2
	v_add_f32_e32 v2, 0x3102e09b, v2
	v_fma_f32 v4, v1, v2, -v4
	;; [unrolled: 2-line block ×7, first 2 shown]
	v_mul_f32_e32 v4, 0.5, v3
	s_mov_b32 s0, 0x800000
	v_cmp_gt_f32_e32 vcc, s0, v4
	v_cndmask_b32_e64 v5, 0, 32, vcc
	v_ldexp_f32 v4, v4, v5
	v_log_f32_e32 v4, v4
	v_add_f32_e32 v1, 0xbf090b37, v1
	v_sub_f32_e32 v1, v1, v2
	s_mov_b32 s0, 0x3f317217
	v_mul_f32_e32 v2, 0x3f317217, v4
	v_fma_f32 v2, v4, s0, -v2
	v_fmac_f32_e32 v2, 0x3377d1cf, v4
	s_mov_b32 s0, 0x7f800000
	v_fmac_f32_e32 v2, 0x3f317217, v4
	v_cmp_lt_f32_e64 s[0:1], |v4|, s0
	v_cndmask_b32_e64 v2, v4, v2, s[0:1]
	v_mul_f32_e32 v4, 0x3fb8aa3b, v3
	s_mov_b32 s0, 0x3fb8aa3b
	v_rndne_f32_e32 v5, v4
	v_sub_f32_e32 v6, v4, v5
	v_fma_f32 v4, v3, s0, -v4
	v_fmac_f32_e32 v4, 0x32a5705f, v3
	v_add_f32_e32 v4, v6, v4
	v_exp_f32_e32 v4, v4
	v_cvt_i32_f32_e32 v5, v5
	v_mov_b32_e32 v6, 0x41b17218
	s_mov_b32 s0, 0xc2ce8ed0
	v_cndmask_b32_e32 v6, 0, v6, vcc
	v_ldexp_f32 v4, v4, v5
	v_cmp_ngt_f32_e32 vcc, s0, v3
	s_mov_b32 s0, 0x42b17218
	v_cndmask_b32_e32 v4, 0, v4, vcc
	v_mov_b32_e32 v5, 0x7f800000
	v_cmp_nlt_f32_e32 vcc, s0, v3
	v_cndmask_b32_e32 v4, v5, v4, vcc
	v_fma_f32 v3, v3, 0.5, -2.0
	v_mov_b32_e32 v5, 0x24199b15
	v_sub_f32_e32 v2, v2, v6
	v_fmac_f32_e32 v5, 0xa2a2e5b9, v3
	v_mov_b32_e32 v6, 0x22a2e5b9
	v_fmac_f32_e32 v6, v3, v5
	v_add_f32_e32 v6, 0xa58c275c, v6
	v_fma_f32 v5, v3, v6, -v5
	v_add_f32_e32 v5, 0x26f736c5, v5
	v_fma_f32 v6, v3, v5, -v6
	;; [unrolled: 2-line block ×27, first 2 shown]
	v_add_f32_e32 v3, 0x3f2d4275, v3
	v_sub_f32_e32 v3, v3, v5
	v_mul_f32_e32 v3, 0.5, v3
	v_mul_f32_e32 v3, v4, v3
	v_mul_f32_e32 v2, v2, v3
	v_fma_f32 v1, v1, 0.5, -v2
	v_mul_f32_e32 v1, v4, v1
                                        ; implicit-def: $vgpr3
.LBB19_29:
	s_andn2_saveexec_b64 s[12:13], s[12:13]
	s_cbranch_execz .LBB19_31
; %bb.30:
	s_mov_b32 s14, 0x41000000
	v_div_scale_f32 v1, s[0:1], v3, v3, s14
	v_div_scale_f32 v2, vcc, s14, v3, s14
	s_mov_b32 s0, 0xf800000
	v_mul_f32_e32 v4, 0x4f800000, v3
	v_cmp_gt_f32_e64 s[0:1], s0, v3
	v_cndmask_b32_e64 v4, v3, v4, s[0:1]
	v_sqrt_f32_e32 v6, v4
	v_add_u32_e32 v10, 1, v6
	v_fma_f32 v12, -v10, v6, v4
	v_rcp_f32_e32 v5, v1
	v_fma_f32 v7, -v1, v5, 1.0
	v_fmac_f32_e32 v5, v7, v5
	v_mul_f32_e32 v7, v2, v5
	v_fma_f32 v9, -v1, v7, v2
	v_fmac_f32_e32 v7, v9, v5
	v_fma_f32 v1, -v1, v7, v2
	v_div_fmas_f32 v1, v1, v5, v7
	v_mov_b32_e32 v2, 0xa397f665
	v_mov_b32_e32 v5, 0xa2c38d2e
	v_add_u32_e32 v9, -1, v6
	v_fma_f32 v11, -v9, v6, v4
	v_cmp_ge_f32_e32 vcc, 0, v11
	v_cndmask_b32_e32 v6, v6, v9, vcc
	v_cmp_lt_f32_e32 vcc, 0, v12
	v_cndmask_b32_e32 v6, v6, v10, vcc
	v_mov_b32_e32 v7, 0x260
	v_mul_f32_e32 v9, 0x37800000, v6
	v_cndmask_b32_e64 v6, v6, v9, s[0:1]
	v_cmp_class_f32_e32 vcc, v4, v7
	v_cndmask_b32_e32 v4, v6, v4, vcc
	v_div_fixup_f32 v1, v1, v3, s14
	v_add_f32_e32 v1, -2.0, v1
	v_fmac_f32_e32 v2, 0x22c38d2e, v1
	v_fmac_f32_e32 v5, v1, v2
	v_add_f32_e32 v3, 0x24704972, v5
	v_fma_f32 v2, v1, v3, -v2
	v_add_f32_e32 v2, 0xa5417ca4, v2
	v_fma_f32 v3, v1, v2, -v3
	;; [unrolled: 2-line block ×22, first 2 shown]
	v_add_f32_e32 v1, 0x401c2ded, v1
	v_sub_f32_e32 v1, v1, v3
	v_mul_f32_e32 v1, 0.5, v1
	v_div_scale_f32 v2, s[0:1], v4, v4, v1
	v_div_scale_f32 v3, vcc, v1, v4, v1
	v_rcp_f32_e32 v5, v2
	v_fma_f32 v6, -v2, v5, 1.0
	v_fmac_f32_e32 v5, v6, v5
	v_mul_f32_e32 v6, v3, v5
	v_fma_f32 v7, -v2, v6, v3
	v_fmac_f32_e32 v6, v7, v5
	v_fma_f32 v2, -v2, v6, v3
	v_div_fmas_f32 v2, v2, v5, v6
	v_div_fixup_f32 v1, v2, v4, v1
.LBB19_31:
	s_or_b64 exec, exec, s[12:13]
.LBB19_32:
	s_or_b64 exec, exec, s[10:11]
.LBB19_33:
	s_or_b64 exec, exec, s[8:9]
	v_mov_b32_e32 v2, s25
	s_and_b32 s14, s73, 0xff
	v_add_co_u32_e32 v3, vcc, s24, v0
	s_cmp_lt_i32 s14, 11
	v_addc_co_u32_e32 v4, vcc, 0, v2, vcc
	s_cbranch_scc1 .LBB19_41
; %bb.34:
	s_and_b32 s15, 0xffff, s14
	s_cmp_gt_i32 s15, 25
	s_cbranch_scc0 .LBB19_44
; %bb.35:
	s_cmp_gt_i32 s15, 28
	s_cbranch_scc0 .LBB19_46
; %bb.36:
	;; [unrolled: 3-line block ×4, first 2 shown]
	s_mov_b64 s[10:11], 0
	s_mov_b64 s[0:1], -1
	s_cmp_eq_u32 s15, 46
	s_mov_b64 s[8:9], 0
	s_cbranch_scc0 .LBB19_55
; %bb.39:
	v_bfe_u32 v0, v1, 16, 1
	s_movk_i32 s0, 0x7fff
	v_add3_u32 v0, v1, v0, s0
	v_cmp_o_f32_e32 vcc, v1, v1
	v_mov_b32_e32 v2, 0x7fc0
	v_cndmask_b32_sdwa v0, v2, v0, vcc dst_sel:DWORD dst_unused:UNUSED_PAD src0_sel:DWORD src1_sel:WORD_1
	global_store_dword v[3:4], v0, off
	s_mov_b64 s[8:9], -1
	s_mov_b64 s[0:1], 0
	s_branch .LBB19_55
.LBB19_40:
	s_mov_b64 s[2:3], 0
	s_mov_b64 s[0:1], 0
                                        ; implicit-def: $vgpr3
	s_cbranch_execnz .LBB19_189
	s_branch .LBB19_223
.LBB19_41:
	s_mov_b64 s[0:1], 0
	s_mov_b64 s[8:9], 0
	s_cbranch_execnz .LBB19_124
.LBB19_42:
	s_andn2_b64 vcc, exec, s[8:9]
	s_cbranch_vccnz .LBB19_272
	s_branch .LBB19_162
.LBB19_43:
	s_mov_b64 s[8:9], -1
	s_mov_b64 s[2:3], 0
	s_mov_b64 s[0:1], 0
                                        ; implicit-def: $vgpr3
	s_branch .LBB19_170
.LBB19_44:
	s_mov_b64 s[10:11], -1
	s_mov_b64 s[0:1], 0
	s_mov_b64 s[8:9], 0
	s_branch .LBB19_82
.LBB19_45:
	s_mov_b64 s[8:9], -1
	s_mov_b64 s[2:3], 0
	s_mov_b64 s[0:1], 0
                                        ; implicit-def: $vgpr3
	s_branch .LBB19_165
.LBB19_46:
	s_mov_b64 s[10:11], -1
	s_mov_b64 s[0:1], 0
	s_mov_b64 s[8:9], 0
	s_branch .LBB19_65
.LBB19_47:
	s_mov_b64 s[8:9], -1
	s_mov_b64 s[2:3], 0
	s_branch .LBB19_50
.LBB19_48:
	s_mov_b64 s[10:11], -1
	s_mov_b64 s[0:1], 0
	s_mov_b64 s[8:9], 0
	s_branch .LBB19_61
.LBB19_49:
	s_mov_b64 s[2:3], -1
.LBB19_50:
	s_mov_b64 s[0:1], 0
                                        ; implicit-def: $vgpr3
.LBB19_51:
	s_and_b64 vcc, exec, s[8:9]
	s_cbranch_vccz .LBB19_164
; %bb.52:
	s_cmp_eq_u32 s12, 44
	s_cbranch_scc0 .LBB19_163
; %bb.53:
	global_load_ubyte v3, v[1:2], off
	s_movk_i32 s2, 0xff
	v_mov_b32_e32 v4, 0x7f800001
	v_mov_b32_e32 v5, 0x400000
	s_mov_b64 s[0:1], -1
	s_waitcnt vmcnt(0)
	v_lshlrev_b32_e32 v6, 23, v3
	v_cmp_ne_u32_e32 vcc, s2, v3
	v_cndmask_b32_e32 v4, v4, v6, vcc
	v_cmp_ne_u32_e32 vcc, 0, v3
	v_cndmask_b32_e32 v3, v5, v4, vcc
	s_mov_b64 s[2:3], 0
	s_branch .LBB19_164
.LBB19_54:
	s_mov_b64 s[10:11], -1
	s_mov_b64 s[0:1], 0
	s_mov_b64 s[8:9], 0
.LBB19_55:
	s_and_b64 vcc, exec, s[10:11]
	s_cbranch_vccz .LBB19_60
; %bb.56:
	s_cmp_eq_u32 s15, 44
	s_mov_b64 s[0:1], -1
	s_cbranch_scc0 .LBB19_60
; %bb.57:
	v_bfe_u32 v0, v1, 23, 8
	s_movk_i32 s0, 0xff
	v_cmp_ne_u32_e32 vcc, s0, v0
	v_mov_b32_e32 v2, 0xff
	s_and_saveexec_b64 s[8:9], vcc
; %bb.58:
	s_mov_b32 s0, 0x3fffff
	v_and_b32_e32 v5, 0x400000, v1
	v_and_or_b32 v0, v1, s0, v0
	v_cmp_ne_u32_e32 vcc, 0, v5
	v_cmp_ne_u32_e64 s[0:1], 0, v0
	s_and_b64 s[0:1], vcc, s[0:1]
	v_lshrrev_b32_e32 v2, 23, v1
	v_cndmask_b32_e64 v0, 0, 1, s[0:1]
	v_add_u32_e32 v2, v2, v0
; %bb.59:
	s_or_b64 exec, exec, s[8:9]
	s_mov_b64 s[8:9], -1
	s_mov_b64 s[0:1], 0
	global_store_byte v[3:4], v2, off
.LBB19_60:
	s_mov_b64 s[10:11], 0
.LBB19_61:
	s_and_b64 vcc, exec, s[10:11]
	s_cbranch_vccz .LBB19_64
; %bb.62:
	s_cmp_eq_u32 s15, 29
	s_mov_b64 s[0:1], -1
	s_cbranch_scc0 .LBB19_64
; %bb.63:
	v_trunc_f32_e32 v0, v1
	v_mul_f32_e32 v2, 0x2f800000, v0
	v_floor_f32_e32 v2, v2
	v_fmac_f32_e32 v0, 0xcf800000, v2
	v_cvt_u32_f32_e32 v6, v2
	v_cvt_u32_f32_e32 v5, v0
	s_mov_b64 s[8:9], -1
	s_mov_b64 s[0:1], 0
	s_mov_b64 s[10:11], 0
	global_store_dwordx2 v[3:4], v[5:6], off
	s_branch .LBB19_65
.LBB19_64:
	s_mov_b64 s[10:11], 0
.LBB19_65:
	s_and_b64 vcc, exec, s[10:11]
	s_cbranch_vccz .LBB19_81
; %bb.66:
	s_cmp_lt_i32 s15, 27
	s_mov_b64 s[8:9], -1
	s_cbranch_scc1 .LBB19_72
; %bb.67:
	v_cvt_u32_f32_e32 v0, v1
	s_cmp_gt_i32 s15, 27
	s_cbranch_scc0 .LBB19_69
; %bb.68:
	s_mov_b64 s[8:9], 0
	global_store_dword v[3:4], v0, off
.LBB19_69:
	s_andn2_b64 vcc, exec, s[8:9]
	s_cbranch_vccnz .LBB19_71
; %bb.70:
	global_store_short v[3:4], v0, off
.LBB19_71:
	s_mov_b64 s[8:9], 0
.LBB19_72:
	s_andn2_b64 vcc, exec, s[8:9]
	s_cbranch_vccnz .LBB19_80
; %bb.73:
	v_and_b32_e32 v0, 0x7fffffff, v1
	s_mov_b32 s8, 0x43800000
	v_cmp_gt_u32_e32 vcc, s8, v0
	v_mov_b32_e32 v2, 0x80
	s_and_saveexec_b64 s[8:9], vcc
	s_cbranch_execz .LBB19_79
; %bb.74:
	s_mov_b32 s10, 0x3bffffff
	v_cmp_lt_u32_e32 vcc, s10, v0
	s_mov_b64 s[10:11], 0
                                        ; implicit-def: $vgpr0
	s_and_saveexec_b64 s[12:13], vcc
	s_xor_b64 s[12:13], exec, s[12:13]
	s_cbranch_execz .LBB19_323
; %bb.75:
	v_bfe_u32 v0, v1, 20, 1
	s_mov_b32 s16, 0x487ffff
	v_add3_u32 v0, v1, v0, s16
	s_mov_b64 s[10:11], exec
	v_lshrrev_b32_e32 v0, 20, v0
	s_andn2_saveexec_b64 s[12:13], s[12:13]
	s_cbranch_execnz .LBB19_324
.LBB19_76:
	s_or_b64 exec, exec, s[12:13]
	v_mov_b32_e32 v2, 0
	s_and_saveexec_b64 s[12:13], s[10:11]
.LBB19_77:
	v_lshrrev_b32_e32 v2, 24, v1
	s_movk_i32 s10, 0x80
	v_and_or_b32 v2, v2, s10, v0
.LBB19_78:
	s_or_b64 exec, exec, s[12:13]
.LBB19_79:
	s_or_b64 exec, exec, s[8:9]
	global_store_byte v[3:4], v2, off
.LBB19_80:
	s_mov_b64 s[8:9], -1
.LBB19_81:
	s_mov_b64 s[10:11], 0
.LBB19_82:
	s_and_b64 vcc, exec, s[10:11]
	s_cbranch_vccz .LBB19_123
; %bb.83:
	s_cmp_gt_i32 s15, 22
	s_mov_b64 s[10:11], -1
	s_cbranch_scc0 .LBB19_115
; %bb.84:
	s_cmp_lt_i32 s15, 24
	s_mov_b64 s[8:9], -1
	s_cbranch_scc1 .LBB19_104
; %bb.85:
	s_cmp_gt_i32 s15, 24
	s_cbranch_scc0 .LBB19_93
; %bb.86:
	v_and_b32_e32 v0, 0x7fffffff, v1
	s_mov_b32 s8, 0x47800000
	v_cmp_gt_u32_e32 vcc, s8, v0
	v_mov_b32_e32 v2, 0x80
	s_and_saveexec_b64 s[8:9], vcc
	s_cbranch_execz .LBB19_92
; %bb.87:
	s_mov_b32 s10, 0x37ffffff
	v_cmp_lt_u32_e32 vcc, s10, v0
	s_mov_b64 s[10:11], 0
                                        ; implicit-def: $vgpr0
	s_and_saveexec_b64 s[12:13], vcc
	s_xor_b64 s[12:13], exec, s[12:13]
	s_cbranch_execz .LBB19_327
; %bb.88:
	v_bfe_u32 v0, v1, 21, 1
	s_mov_b32 s16, 0x88fffff
	v_add3_u32 v0, v1, v0, s16
	s_mov_b64 s[10:11], exec
	v_lshrrev_b32_e32 v0, 21, v0
	s_andn2_saveexec_b64 s[12:13], s[12:13]
	s_cbranch_execnz .LBB19_328
.LBB19_89:
	s_or_b64 exec, exec, s[12:13]
	v_mov_b32_e32 v2, 0
	s_and_saveexec_b64 s[12:13], s[10:11]
.LBB19_90:
	v_lshrrev_b32_e32 v2, 24, v1
	s_movk_i32 s10, 0x80
	v_and_or_b32 v2, v2, s10, v0
.LBB19_91:
	s_or_b64 exec, exec, s[12:13]
.LBB19_92:
	s_or_b64 exec, exec, s[8:9]
	s_mov_b64 s[8:9], 0
	global_store_byte v[3:4], v2, off
.LBB19_93:
	s_and_b64 vcc, exec, s[8:9]
	s_cbranch_vccz .LBB19_103
; %bb.94:
	v_and_b32_e32 v2, 0x7fffffff, v1
	s_mov_b32 s8, 0x43f00000
	v_cmp_gt_u32_e32 vcc, s8, v2
                                        ; implicit-def: $vgpr0
	s_and_saveexec_b64 s[8:9], vcc
	s_xor_b64 s[8:9], exec, s[8:9]
	s_cbranch_execz .LBB19_100
; %bb.95:
	s_mov_b32 s10, 0x3c7fffff
	v_cmp_lt_u32_e32 vcc, s10, v2
                                        ; implicit-def: $vgpr0
	s_and_saveexec_b64 s[10:11], vcc
	s_xor_b64 s[10:11], exec, s[10:11]
; %bb.96:
	v_bfe_u32 v0, v1, 20, 1
	s_mov_b32 s12, 0x407ffff
	v_add3_u32 v0, v1, v0, s12
	v_lshrrev_b32_e32 v2, 20, v0
	v_and_b32_e32 v0, 0xff00000, v0
	s_mov_b32 s12, 0x7f00000
	v_mov_b32_e32 v5, 0x7e
	v_cmp_ne_u32_e32 vcc, s12, v0
	v_cndmask_b32_e32 v0, v5, v2, vcc
; %bb.97:
	s_andn2_saveexec_b64 s[10:11], s[10:11]
; %bb.98:
	s_mov_b32 s12, 0x46800000
	v_add_f32_e64 v0, |v1|, s12
; %bb.99:
	s_or_b64 exec, exec, s[10:11]
                                        ; implicit-def: $vgpr2
.LBB19_100:
	s_andn2_saveexec_b64 s[8:9], s[8:9]
; %bb.101:
	s_mov_b32 s10, 0x7f800000
	v_mov_b32_e32 v0, 0x7e
	v_mov_b32_e32 v5, 0x7f
	v_cmp_lt_u32_e32 vcc, s10, v2
	v_cndmask_b32_e32 v0, v0, v5, vcc
; %bb.102:
	s_or_b64 exec, exec, s[8:9]
	v_lshrrev_b32_e32 v2, 24, v1
	s_movk_i32 s8, 0x80
	v_and_or_b32 v0, v2, s8, v0
	global_store_byte v[3:4], v0, off
.LBB19_103:
	s_mov_b64 s[8:9], 0
.LBB19_104:
	s_andn2_b64 vcc, exec, s[8:9]
	s_cbranch_vccnz .LBB19_114
; %bb.105:
	v_and_b32_e32 v2, 0x7fffffff, v1
	s_mov_b32 s8, 0x47800000
	v_cmp_gt_u32_e32 vcc, s8, v2
                                        ; implicit-def: $vgpr0
	s_and_saveexec_b64 s[8:9], vcc
	s_xor_b64 s[8:9], exec, s[8:9]
	s_cbranch_execz .LBB19_111
; %bb.106:
	s_mov_b32 s10, 0x387fffff
	v_cmp_lt_u32_e32 vcc, s10, v2
                                        ; implicit-def: $vgpr0
	s_and_saveexec_b64 s[10:11], vcc
	s_xor_b64 s[10:11], exec, s[10:11]
; %bb.107:
	v_bfe_u32 v0, v1, 21, 1
	s_mov_b32 s12, 0x80fffff
	v_add3_u32 v0, v1, v0, s12
	v_lshrrev_b32_e32 v0, 21, v0
; %bb.108:
	s_andn2_saveexec_b64 s[10:11], s[10:11]
; %bb.109:
	s_mov_b32 s12, 0x43000000
	v_add_f32_e64 v0, |v1|, s12
; %bb.110:
	s_or_b64 exec, exec, s[10:11]
                                        ; implicit-def: $vgpr2
.LBB19_111:
	s_andn2_saveexec_b64 s[8:9], s[8:9]
; %bb.112:
	s_mov_b32 s10, 0x7f800000
	v_mov_b32_e32 v0, 0x7c
	v_mov_b32_e32 v5, 0x7f
	v_cmp_lt_u32_e32 vcc, s10, v2
	v_cndmask_b32_e32 v0, v0, v5, vcc
; %bb.113:
	s_or_b64 exec, exec, s[8:9]
	v_lshrrev_b32_e32 v2, 24, v1
	s_movk_i32 s8, 0x80
	v_and_or_b32 v0, v2, s8, v0
	global_store_byte v[3:4], v0, off
.LBB19_114:
	s_mov_b64 s[10:11], 0
	s_mov_b64 s[8:9], -1
.LBB19_115:
	s_andn2_b64 vcc, exec, s[10:11]
	s_cbranch_vccnz .LBB19_123
; %bb.116:
	s_cmp_gt_i32 s15, 14
	s_mov_b64 s[10:11], -1
	s_cbranch_scc0 .LBB19_120
; %bb.117:
	s_cmp_eq_u32 s15, 15
	s_mov_b64 s[0:1], -1
	s_cbranch_scc0 .LBB19_119
; %bb.118:
	v_bfe_u32 v0, v1, 16, 1
	s_movk_i32 s0, 0x7fff
	v_add3_u32 v0, v1, v0, s0
	v_cmp_o_f32_e32 vcc, v1, v1
	v_mov_b32_e32 v2, 0x7fc0
	v_cndmask_b32_sdwa v0, v2, v0, vcc dst_sel:DWORD dst_unused:UNUSED_PAD src0_sel:DWORD src1_sel:WORD_1
	global_store_short v[3:4], v0, off
	s_mov_b64 s[8:9], -1
	s_mov_b64 s[0:1], 0
.LBB19_119:
	s_mov_b64 s[10:11], 0
.LBB19_120:
	s_and_b64 vcc, exec, s[10:11]
	s_cbranch_vccz .LBB19_123
; %bb.121:
	s_cmp_eq_u32 s15, 11
	s_mov_b64 s[0:1], -1
	s_cbranch_scc0 .LBB19_123
; %bb.122:
	v_cmp_neq_f32_e32 vcc, 0, v1
	v_cndmask_b32_e64 v0, 0, 1, vcc
	s_mov_b64 s[8:9], -1
	s_mov_b64 s[0:1], 0
	global_store_byte v[3:4], v0, off
.LBB19_123:
	s_branch .LBB19_42
.LBB19_124:
	s_and_b32 s10, 0xffff, s14
	s_cmp_lt_i32 s10, 5
	s_mov_b64 s[8:9], -1
	s_cbranch_scc1 .LBB19_145
; %bb.125:
	s_cmp_lt_i32 s10, 8
	s_cbranch_scc1 .LBB19_135
; %bb.126:
	s_cmp_lt_i32 s10, 9
	s_cbranch_scc1 .LBB19_132
; %bb.127:
	s_cmp_gt_i32 s10, 9
	s_cbranch_scc0 .LBB19_129
; %bb.128:
	v_cvt_f64_f32_e32 v[9:10], v1
	v_mov_b32_e32 v11, 0
	v_mov_b32_e32 v12, v11
	s_mov_b64 s[8:9], 0
	global_store_dwordx4 v[3:4], v[9:12], off
.LBB19_129:
	s_andn2_b64 vcc, exec, s[8:9]
	s_cbranch_vccnz .LBB19_131
; %bb.130:
	v_mov_b32_e32 v2, 0
	global_store_dwordx2 v[3:4], v[1:2], off
.LBB19_131:
	s_mov_b64 s[8:9], 0
.LBB19_132:
	s_andn2_b64 vcc, exec, s[8:9]
	s_cbranch_vccnz .LBB19_134
; %bb.133:
	v_cvt_f16_f32_e32 v0, v1
	global_store_dword v[3:4], v0, off
.LBB19_134:
	s_mov_b64 s[8:9], 0
.LBB19_135:
	s_andn2_b64 vcc, exec, s[8:9]
	s_cbranch_vccnz .LBB19_144
; %bb.136:
	s_cmp_lt_i32 s10, 6
	s_mov_b64 s[8:9], -1
	s_cbranch_scc1 .LBB19_142
; %bb.137:
	s_cmp_gt_i32 s10, 6
	s_cbranch_scc0 .LBB19_139
; %bb.138:
	v_cvt_f64_f32_e32 v[5:6], v1
	s_mov_b64 s[8:9], 0
	global_store_dwordx2 v[3:4], v[5:6], off
.LBB19_139:
	s_andn2_b64 vcc, exec, s[8:9]
	s_cbranch_vccnz .LBB19_141
; %bb.140:
	global_store_dword v[3:4], v1, off
.LBB19_141:
	s_mov_b64 s[8:9], 0
.LBB19_142:
	s_andn2_b64 vcc, exec, s[8:9]
	s_cbranch_vccnz .LBB19_144
; %bb.143:
	v_cvt_f16_f32_e32 v0, v1
	global_store_short v[3:4], v0, off
.LBB19_144:
	s_mov_b64 s[8:9], 0
.LBB19_145:
	s_andn2_b64 vcc, exec, s[8:9]
	s_cbranch_vccnz .LBB19_161
; %bb.146:
	s_cmp_lt_i32 s10, 2
	s_mov_b64 s[8:9], -1
	s_cbranch_scc1 .LBB19_156
; %bb.147:
	s_cmp_lt_i32 s10, 3
	s_cbranch_scc1 .LBB19_153
; %bb.148:
	s_cmp_gt_i32 s10, 3
	s_cbranch_scc0 .LBB19_150
; %bb.149:
	v_trunc_f32_e32 v0, v1
	s_mov_b32 s8, 0x2f800000
	v_mul_f32_e64 v2, |v0|, s8
	v_floor_f32_e32 v2, v2
	s_mov_b32 s8, 0xcf800000
	v_cvt_u32_f32_e32 v5, v2
	v_fma_f32 v2, v2, s8, |v0|
	v_cvt_u32_f32_e32 v2, v2
	v_ashrrev_i32_e32 v0, 31, v0
	v_xor_b32_e32 v6, v5, v0
	s_mov_b64 s[8:9], 0
	v_xor_b32_e32 v2, v2, v0
	v_sub_co_u32_e32 v5, vcc, v2, v0
	v_subb_co_u32_e32 v6, vcc, v6, v0, vcc
	global_store_dwordx2 v[3:4], v[5:6], off
.LBB19_150:
	s_andn2_b64 vcc, exec, s[8:9]
	s_cbranch_vccnz .LBB19_152
; %bb.151:
	v_cvt_i32_f32_e32 v0, v1
	global_store_dword v[3:4], v0, off
.LBB19_152:
	s_mov_b64 s[8:9], 0
.LBB19_153:
	s_andn2_b64 vcc, exec, s[8:9]
	s_cbranch_vccnz .LBB19_155
; %bb.154:
	v_cvt_i32_f32_e32 v0, v1
	global_store_short v[3:4], v0, off
.LBB19_155:
	s_mov_b64 s[8:9], 0
.LBB19_156:
	s_andn2_b64 vcc, exec, s[8:9]
	s_cbranch_vccnz .LBB19_161
; %bb.157:
	s_cmp_gt_i32 s10, 0
	s_mov_b64 s[8:9], -1
	s_cbranch_scc0 .LBB19_159
; %bb.158:
	v_cvt_i32_f32_e32 v0, v1
	s_mov_b64 s[8:9], 0
	global_store_byte v[3:4], v0, off
.LBB19_159:
	s_andn2_b64 vcc, exec, s[8:9]
	s_cbranch_vccnz .LBB19_161
; %bb.160:
	v_trunc_f32_e32 v0, v1
	s_mov_b32 s8, 0x2f800000
	v_mul_f32_e64 v1, |v0|, s8
	v_floor_f32_e32 v1, v1
	s_mov_b32 s8, 0xcf800000
	v_fma_f32 v1, v1, s8, |v0|
	v_cvt_u32_f32_e32 v1, v1
	v_ashrrev_i32_e32 v0, 31, v0
	v_xor_b32_e32 v1, v1, v0
	v_sub_u32_e32 v0, v1, v0
	global_store_byte v[3:4], v0, off
.LBB19_161:
.LBB19_162:
	v_add_u32_e32 v8, 0x80, v8
	s_mov_b64 s[8:9], -1
	s_branch .LBB19_273
.LBB19_163:
	s_mov_b64 s[2:3], -1
                                        ; implicit-def: $vgpr3
.LBB19_164:
	s_mov_b64 s[8:9], 0
.LBB19_165:
	s_and_b64 vcc, exec, s[8:9]
	s_cbranch_vccz .LBB19_169
; %bb.166:
	s_cmp_eq_u32 s12, 29
	s_cbranch_scc0 .LBB19_168
; %bb.167:
	global_load_dwordx2 v[3:4], v[1:2], off
	s_mov_b64 s[0:1], -1
	s_mov_b64 s[2:3], 0
	s_mov_b64 s[8:9], 0
	s_waitcnt vmcnt(0)
	v_ffbh_u32_e32 v5, v4
	v_min_u32_e32 v5, 32, v5
	v_lshlrev_b64 v[3:4], v5, v[3:4]
	v_min_u32_e32 v3, 1, v3
	v_or_b32_e32 v3, v4, v3
	v_cvt_f32_u32_e32 v3, v3
	v_sub_u32_e32 v4, 32, v5
	v_ldexp_f32 v3, v3, v4
	s_branch .LBB19_170
.LBB19_168:
	s_mov_b64 s[2:3], -1
                                        ; implicit-def: $vgpr3
.LBB19_169:
	s_mov_b64 s[8:9], 0
.LBB19_170:
	s_and_b64 vcc, exec, s[8:9]
	s_cbranch_vccz .LBB19_188
; %bb.171:
	s_cmp_lt_i32 s12, 27
	s_cbranch_scc1 .LBB19_174
; %bb.172:
	s_cmp_gt_i32 s12, 27
	s_cbranch_scc0 .LBB19_175
; %bb.173:
	global_load_dword v3, v[1:2], off
	s_mov_b64 s[0:1], 0
	s_waitcnt vmcnt(0)
	v_cvt_f32_u32_e32 v3, v3
	s_branch .LBB19_176
.LBB19_174:
	s_mov_b64 s[0:1], -1
                                        ; implicit-def: $vgpr3
	s_branch .LBB19_179
.LBB19_175:
	s_mov_b64 s[0:1], -1
                                        ; implicit-def: $vgpr3
.LBB19_176:
	s_andn2_b64 vcc, exec, s[0:1]
	s_cbranch_vccnz .LBB19_178
; %bb.177:
	global_load_ushort v3, v[1:2], off
	s_waitcnt vmcnt(0)
	v_cvt_f32_u32_e32 v3, v3
.LBB19_178:
	s_mov_b64 s[0:1], 0
.LBB19_179:
	s_andn2_b64 vcc, exec, s[0:1]
	s_cbranch_vccnz .LBB19_187
; %bb.180:
	global_load_ubyte v4, v[1:2], off
	s_movk_i32 s0, 0x7f
	s_waitcnt vmcnt(0)
	v_cmp_lt_i16_e32 vcc, s0, v4
	s_mov_b64 s[0:1], 0
	s_and_saveexec_b64 s[8:9], vcc
	s_xor_b64 s[8:9], exec, s[8:9]
	s_cbranch_execz .LBB19_200
; %bb.181:
	s_movk_i32 s0, 0x80
	v_cmp_eq_u16_e32 vcc, s0, v4
	s_mov_b64 s[0:1], -1
	s_and_saveexec_b64 s[10:11], vcc
; %bb.182:
	s_xor_b64 s[0:1], exec, -1
; %bb.183:
	s_or_b64 exec, exec, s[10:11]
	s_and_b64 s[0:1], s[0:1], exec
	s_or_saveexec_b64 s[8:9], s[8:9]
	v_mov_b32_e32 v3, 0x7f800001
	s_xor_b64 exec, exec, s[8:9]
	s_cbranch_execnz .LBB19_201
.LBB19_184:
	s_or_b64 exec, exec, s[8:9]
	s_and_saveexec_b64 s[8:9], s[0:1]
	s_cbranch_execz .LBB19_186
.LBB19_185:
	v_lshlrev_b32_e32 v3, 24, v4
	v_and_b32_e32 v4, 0xffff, v4
	v_and_b32_e32 v5, 7, v4
	v_ffbh_u32_e32 v7, v5
	v_min_u32_e32 v7, 32, v7
	v_subrev_u32_e32 v9, 28, v7
	v_bfe_u32 v6, v4, 3, 4
	v_lshlrev_b32_e32 v4, v9, v4
	v_sub_u32_e32 v7, 29, v7
	v_and_b32_e32 v4, 7, v4
	v_cmp_eq_u32_e32 vcc, 0, v6
	v_cndmask_b32_e32 v6, v6, v7, vcc
	v_cndmask_b32_e32 v4, v5, v4, vcc
	v_mov_b32_e32 v5, 0x3b800000
	v_lshlrev_b32_e32 v4, 20, v4
	v_and_b32_e32 v3, 0x80000000, v3
	v_lshl_add_u32 v5, v6, 23, v5
	v_or3_b32 v3, v3, v5, v4
.LBB19_186:
	s_or_b64 exec, exec, s[8:9]
.LBB19_187:
	s_mov_b64 s[0:1], -1
.LBB19_188:
	s_branch .LBB19_223
.LBB19_189:
	s_cmp_gt_i32 s12, 22
	s_cbranch_scc0 .LBB19_199
; %bb.190:
	s_cmp_lt_i32 s12, 24
	s_cbranch_scc1 .LBB19_202
; %bb.191:
	s_cmp_gt_i32 s12, 24
	s_cbranch_scc0 .LBB19_203
; %bb.192:
	global_load_ubyte v4, v[1:2], off
	s_movk_i32 s0, 0x7f
	s_waitcnt vmcnt(0)
	v_cmp_lt_i16_e32 vcc, s0, v4
	s_mov_b64 s[0:1], 0
	s_and_saveexec_b64 s[8:9], vcc
	s_xor_b64 s[8:9], exec, s[8:9]
	s_cbranch_execz .LBB19_215
; %bb.193:
	s_movk_i32 s0, 0x80
	v_cmp_eq_u16_e32 vcc, s0, v4
	s_mov_b64 s[0:1], -1
	s_and_saveexec_b64 s[10:11], vcc
; %bb.194:
	s_xor_b64 s[0:1], exec, -1
; %bb.195:
	s_or_b64 exec, exec, s[10:11]
	s_and_b64 s[0:1], s[0:1], exec
	s_or_saveexec_b64 s[8:9], s[8:9]
	v_mov_b32_e32 v3, 0x7f800001
	s_xor_b64 exec, exec, s[8:9]
	s_cbranch_execnz .LBB19_216
.LBB19_196:
	s_or_b64 exec, exec, s[8:9]
	s_and_saveexec_b64 s[8:9], s[0:1]
	s_cbranch_execz .LBB19_198
.LBB19_197:
	v_lshlrev_b32_e32 v3, 24, v4
	v_and_b32_e32 v4, 0xffff, v4
	v_and_b32_e32 v5, 3, v4
	v_ffbh_u32_e32 v7, v5
	v_min_u32_e32 v7, 32, v7
	v_subrev_u32_e32 v9, 29, v7
	v_bfe_u32 v6, v4, 2, 5
	v_lshlrev_b32_e32 v4, v9, v4
	v_sub_u32_e32 v7, 30, v7
	v_and_b32_e32 v4, 3, v4
	v_cmp_eq_u32_e32 vcc, 0, v6
	v_cndmask_b32_e32 v6, v6, v7, vcc
	v_cndmask_b32_e32 v4, v5, v4, vcc
	v_mov_b32_e32 v5, 0x37800000
	v_lshlrev_b32_e32 v4, 21, v4
	v_and_b32_e32 v3, 0x80000000, v3
	v_lshl_add_u32 v5, v6, 23, v5
	v_or3_b32 v3, v3, v5, v4
.LBB19_198:
	s_or_b64 exec, exec, s[8:9]
	s_mov_b64 s[0:1], 0
	s_branch .LBB19_204
.LBB19_199:
	s_mov_b64 s[8:9], -1
                                        ; implicit-def: $vgpr3
	s_branch .LBB19_210
.LBB19_200:
	s_or_saveexec_b64 s[8:9], s[8:9]
	v_mov_b32_e32 v3, 0x7f800001
	s_xor_b64 exec, exec, s[8:9]
	s_cbranch_execz .LBB19_184
.LBB19_201:
	v_cmp_ne_u16_e32 vcc, 0, v4
	s_andn2_b64 s[0:1], s[0:1], exec
	s_and_b64 s[10:11], vcc, exec
	v_mov_b32_e32 v3, 0
	s_or_b64 s[0:1], s[0:1], s[10:11]
	s_or_b64 exec, exec, s[8:9]
	s_and_saveexec_b64 s[8:9], s[0:1]
	s_cbranch_execnz .LBB19_185
	s_branch .LBB19_186
.LBB19_202:
	s_mov_b64 s[0:1], -1
                                        ; implicit-def: $vgpr3
	s_branch .LBB19_207
.LBB19_203:
	s_mov_b64 s[0:1], -1
                                        ; implicit-def: $vgpr3
.LBB19_204:
	s_and_b64 vcc, exec, s[0:1]
	s_cbranch_vccz .LBB19_206
; %bb.205:
	global_load_ubyte v3, v[1:2], off
	s_mov_b32 s0, 0x7f800000
	s_waitcnt vmcnt(0)
	v_lshlrev_b32_e32 v3, 24, v3
	v_and_b32_e32 v4, 0x7f000000, v3
	v_ffbh_u32_e32 v5, v4
	v_min_u32_e32 v5, 32, v5
	v_sub_u32_e64 v5, v5, 4 clamp
	v_lshlrev_b32_e32 v7, v5, v4
	v_lshlrev_b32_e32 v5, 23, v5
	v_lshrrev_b32_e32 v7, 4, v7
	v_add_u32_e32 v6, 0x1000000, v4
	v_sub_u32_e32 v5, v7, v5
	v_ashrrev_i32_e32 v6, 8, v6
	v_add_u32_e32 v5, 0x3c000000, v5
	v_and_or_b32 v5, v6, s0, v5
	v_cmp_ne_u32_e32 vcc, 0, v4
	v_cndmask_b32_e32 v4, 0, v5, vcc
	s_brev_b32 s0, 1
	v_and_or_b32 v3, v3, s0, v4
.LBB19_206:
	s_mov_b64 s[0:1], 0
.LBB19_207:
	s_andn2_b64 vcc, exec, s[0:1]
	s_cbranch_vccnz .LBB19_209
; %bb.208:
	global_load_ubyte v3, v[1:2], off
	s_movk_i32 s0, 0x7f00
	s_brev_b32 s1, 16
	s_waitcnt vmcnt(0)
	v_lshlrev_b16_e32 v4, 8, v3
	v_lshlrev_b32_e32 v3, 25, v3
	v_lshrrev_b32_e32 v5, 4, v3
	v_and_or_b32 v6, v4, s0, 0.5
	v_or_b32_e32 v5, 0x70000000, v5
	v_add_f32_e32 v6, -0.5, v6
	v_mul_f32_e32 v5, 0x7800000, v5
	v_cmp_gt_u32_e32 vcc, s1, v3
	v_bfe_i32 v4, v4, 0, 16
	v_cndmask_b32_e32 v3, v5, v6, vcc
	s_brev_b32 s0, 1
	v_and_or_b32 v3, v4, s0, v3
.LBB19_209:
	s_mov_b64 s[8:9], 0
	s_mov_b64 s[0:1], -1
.LBB19_210:
	s_andn2_b64 vcc, exec, s[8:9]
	s_cbranch_vccnz .LBB19_223
; %bb.211:
	s_cmp_gt_i32 s12, 14
	s_cbranch_scc0 .LBB19_214
; %bb.212:
	s_cmp_eq_u32 s12, 15
	s_cbranch_scc0 .LBB19_217
; %bb.213:
	global_load_ushort v3, v[1:2], off
	s_mov_b64 s[0:1], -1
	s_mov_b64 s[2:3], 0
	s_waitcnt vmcnt(0)
	v_lshlrev_b32_e32 v3, 16, v3
	s_branch .LBB19_218
.LBB19_214:
	s_mov_b64 s[8:9], -1
                                        ; implicit-def: $vgpr3
	s_branch .LBB19_219
.LBB19_215:
	s_or_saveexec_b64 s[8:9], s[8:9]
	v_mov_b32_e32 v3, 0x7f800001
	s_xor_b64 exec, exec, s[8:9]
	s_cbranch_execz .LBB19_196
.LBB19_216:
	v_cmp_ne_u16_e32 vcc, 0, v4
	s_andn2_b64 s[0:1], s[0:1], exec
	s_and_b64 s[10:11], vcc, exec
	v_mov_b32_e32 v3, 0
	s_or_b64 s[0:1], s[0:1], s[10:11]
	s_or_b64 exec, exec, s[8:9]
	s_and_saveexec_b64 s[8:9], s[0:1]
	s_cbranch_execnz .LBB19_197
	s_branch .LBB19_198
.LBB19_217:
	s_mov_b64 s[2:3], -1
                                        ; implicit-def: $vgpr3
.LBB19_218:
	s_mov_b64 s[8:9], 0
.LBB19_219:
	s_and_b64 vcc, exec, s[8:9]
	s_cbranch_vccz .LBB19_223
; %bb.220:
	s_cmp_eq_u32 s12, 11
	s_cbranch_scc0 .LBB19_222
; %bb.221:
	global_load_ubyte v3, v[1:2], off
	s_mov_b64 s[0:1], -1
	s_mov_b64 s[2:3], 0
	s_waitcnt vmcnt(0)
	v_cmp_ne_u16_e32 vcc, 0, v3
	v_cndmask_b32_e64 v3, 0, 1.0, vcc
	s_branch .LBB19_223
.LBB19_222:
	s_mov_b64 s[2:3], -1
                                        ; implicit-def: $vgpr3
.LBB19_223:
	s_branch .LBB19_24
.LBB19_224:
	s_cmp_lt_i32 s12, 5
	s_cbranch_scc1 .LBB19_229
; %bb.225:
	s_cmp_lt_i32 s12, 8
	s_cbranch_scc1 .LBB19_230
; %bb.226:
	;; [unrolled: 3-line block ×3, first 2 shown]
	s_cmp_gt_i32 s12, 9
	s_cbranch_scc0 .LBB19_232
; %bb.228:
	global_load_dwordx2 v[3:4], v[1:2], off
	s_mov_b64 s[0:1], 0
	s_waitcnt vmcnt(0)
	v_cvt_f32_f64_e32 v3, v[3:4]
	s_branch .LBB19_233
.LBB19_229:
                                        ; implicit-def: $vgpr3
	s_branch .LBB19_251
.LBB19_230:
	s_mov_b64 s[0:1], -1
                                        ; implicit-def: $vgpr3
	s_branch .LBB19_239
.LBB19_231:
	s_mov_b64 s[0:1], -1
                                        ; implicit-def: $vgpr3
	s_branch .LBB19_236
.LBB19_232:
	s_mov_b64 s[0:1], -1
                                        ; implicit-def: $vgpr3
.LBB19_233:
	s_andn2_b64 vcc, exec, s[0:1]
	s_cbranch_vccnz .LBB19_235
; %bb.234:
	global_load_dword v3, v[1:2], off
.LBB19_235:
	s_mov_b64 s[0:1], 0
.LBB19_236:
	s_andn2_b64 vcc, exec, s[0:1]
	s_cbranch_vccnz .LBB19_238
; %bb.237:
	global_load_dword v3, v[1:2], off
	s_waitcnt vmcnt(0)
	v_cvt_f32_f16_e32 v3, v3
.LBB19_238:
	s_mov_b64 s[0:1], 0
.LBB19_239:
	s_andn2_b64 vcc, exec, s[0:1]
	s_cbranch_vccnz .LBB19_250
; %bb.240:
	s_cmp_lt_i32 s12, 6
	s_cbranch_scc1 .LBB19_243
; %bb.241:
	s_cmp_gt_i32 s12, 6
	s_cbranch_scc0 .LBB19_244
; %bb.242:
	global_load_dwordx2 v[3:4], v[1:2], off
	s_mov_b64 s[0:1], 0
	s_waitcnt vmcnt(0)
	v_cvt_f32_f64_e32 v3, v[3:4]
	s_branch .LBB19_245
.LBB19_243:
	s_mov_b64 s[0:1], -1
                                        ; implicit-def: $vgpr3
	s_branch .LBB19_248
.LBB19_244:
	s_mov_b64 s[0:1], -1
                                        ; implicit-def: $vgpr3
.LBB19_245:
	s_andn2_b64 vcc, exec, s[0:1]
	s_cbranch_vccnz .LBB19_247
; %bb.246:
	global_load_dword v3, v[1:2], off
.LBB19_247:
	s_mov_b64 s[0:1], 0
.LBB19_248:
	s_andn2_b64 vcc, exec, s[0:1]
	s_cbranch_vccnz .LBB19_250
; %bb.249:
	global_load_ushort v3, v[1:2], off
	s_waitcnt vmcnt(0)
	v_cvt_f32_f16_e32 v3, v3
.LBB19_250:
	s_cbranch_execnz .LBB19_270
.LBB19_251:
	s_cmp_lt_i32 s12, 2
	s_cbranch_scc1 .LBB19_255
; %bb.252:
	s_cmp_lt_i32 s12, 3
	s_cbranch_scc1 .LBB19_256
; %bb.253:
	s_cmp_gt_i32 s12, 3
	s_cbranch_scc0 .LBB19_257
; %bb.254:
	global_load_dwordx2 v[3:4], v[1:2], off
	s_mov_b64 s[0:1], 0
	s_waitcnt vmcnt(0)
	v_xor_b32_e32 v6, v3, v4
	v_ffbh_i32_e32 v5, v4
	v_ashrrev_i32_e32 v6, 31, v6
	v_add_u32_e32 v5, -1, v5
	v_add_u32_e32 v6, 32, v6
	v_min_u32_e32 v5, v5, v6
	v_lshlrev_b64 v[3:4], v5, v[3:4]
	v_min_u32_e32 v3, 1, v3
	v_or_b32_e32 v3, v4, v3
	v_cvt_f32_i32_e32 v3, v3
	v_sub_u32_e32 v4, 32, v5
	v_ldexp_f32 v3, v3, v4
	s_branch .LBB19_258
.LBB19_255:
	s_mov_b64 s[0:1], -1
                                        ; implicit-def: $vgpr3
	s_branch .LBB19_264
.LBB19_256:
	s_mov_b64 s[0:1], -1
                                        ; implicit-def: $vgpr3
	s_branch .LBB19_261
.LBB19_257:
	s_mov_b64 s[0:1], -1
                                        ; implicit-def: $vgpr3
.LBB19_258:
	s_andn2_b64 vcc, exec, s[0:1]
	s_cbranch_vccnz .LBB19_260
; %bb.259:
	global_load_dword v3, v[1:2], off
	s_waitcnt vmcnt(0)
	v_cvt_f32_i32_e32 v3, v3
.LBB19_260:
	s_mov_b64 s[0:1], 0
.LBB19_261:
	s_andn2_b64 vcc, exec, s[0:1]
	s_cbranch_vccnz .LBB19_263
; %bb.262:
	global_load_sshort v3, v[1:2], off
	s_waitcnt vmcnt(0)
	v_cvt_f32_i32_e32 v3, v3
.LBB19_263:
	s_mov_b64 s[0:1], 0
.LBB19_264:
	s_andn2_b64 vcc, exec, s[0:1]
	s_cbranch_vccnz .LBB19_270
; %bb.265:
	s_cmp_gt_i32 s12, 0
	s_cbranch_scc0 .LBB19_267
; %bb.266:
	global_load_sbyte v3, v[1:2], off
	s_mov_b64 s[0:1], 0
	s_waitcnt vmcnt(0)
	v_cvt_f32_i32_e32 v3, v3
	s_branch .LBB19_268
.LBB19_267:
	s_mov_b64 s[0:1], -1
                                        ; implicit-def: $vgpr3
.LBB19_268:
	s_andn2_b64 vcc, exec, s[0:1]
	s_cbranch_vccnz .LBB19_270
; %bb.269:
	global_load_ubyte v1, v[1:2], off
	s_waitcnt vmcnt(0)
	v_cvt_f32_ubyte0_e32 v3, v1
.LBB19_270:
	s_branch .LBB19_25
.LBB19_271:
	s_mov_b64 s[0:1], 0
.LBB19_272:
	s_mov_b64 s[8:9], 0
                                        ; implicit-def: $vgpr8
.LBB19_273:
	s_and_b64 s[52:53], s[0:1], exec
	s_and_b64 s[54:55], s[2:3], exec
	s_orn2_b64 s[2:3], s[8:9], exec
.LBB19_274:
	s_or_b64 exec, exec, s[56:57]
	s_mov_b64 s[10:11], 0
	s_mov_b64 s[0:1], 0
                                        ; implicit-def: $vgpr1_vgpr2
                                        ; implicit-def: $vgpr0
                                        ; implicit-def: $vgpr5
	s_and_saveexec_b64 s[56:57], s[2:3]
	s_cbranch_execz .LBB19_281
; %bb.275:
	v_cmp_gt_i32_e32 vcc, s70, v8
	s_mov_b64 s[0:1], -1
	s_mov_b64 s[58:59], s[54:55]
	s_mov_b64 s[60:61], s[52:53]
	s_and_saveexec_b64 s[62:63], vcc
	s_cbranch_execz .LBB19_558
; %bb.276:
	s_andn2_b64 vcc, exec, s[40:41]
	s_cbranch_vccnz .LBB19_284
; %bb.277:
	s_andn2_b64 vcc, exec, s[50:51]
	s_cbranch_vccnz .LBB19_285
; %bb.278:
	s_add_i32 s65, s75, 1
	s_cmp_eq_u32 s72, 2
	s_cbranch_scc1 .LBB19_286
; %bb.279:
	s_and_b32 s64, s65, 28
	v_mov_b32_e32 v2, 0
	s_mov_b32 s66, 0
	s_mov_b64 s[58:59], s[34:35]
	s_mov_b64 s[60:61], s[48:49]
	v_mov_b32_e32 v0, 0
	v_mov_b32_e32 v1, v8
.LBB19_280:                             ; =>This Inner Loop Header: Depth=1
	s_load_dwordx8 s[16:23], s[58:59], 0x4
	s_load_dwordx4 s[0:3], s[58:59], 0x24
	s_load_dwordx8 s[8:15], s[60:61], 0x0
	s_add_u32 s58, s58, 48
	s_addc_u32 s59, s59, 0
	s_waitcnt vmcnt(0) lgkmcnt(0)
	v_mul_hi_u32 v3, s17, v1
	s_add_i32 s66, s66, 4
	s_add_u32 s60, s60, 32
	s_addc_u32 s61, s61, 0
	v_add_u32_e32 v3, v1, v3
	v_lshrrev_b32_e32 v3, s18, v3
	v_mul_lo_u32 v4, v3, s16
	v_mul_hi_u32 v5, s20, v3
	s_cmp_eq_u32 s64, s66
	v_sub_u32_e32 v1, v1, v4
	v_add_u32_e32 v4, v3, v5
	v_mul_lo_u32 v5, v1, s8
	v_mul_lo_u32 v6, v1, s9
	v_lshrrev_b32_e32 v1, s21, v4
	v_mul_lo_u32 v4, v1, s19
	v_mul_hi_u32 v7, s23, v1
	v_sub_u32_e32 v3, v3, v4
	v_add_u32_e32 v4, v1, v7
	v_lshrrev_b32_e32 v4, s0, v4
	v_mul_hi_u32 v9, s2, v4
	v_mul_lo_u32 v10, v4, s22
	v_mul_lo_u32 v7, v3, s10
	;; [unrolled: 1-line block ×3, first 2 shown]
	v_sub_u32_e32 v10, v1, v10
	v_add_u32_e32 v1, v4, v9
	v_lshrrev_b32_e32 v1, s3, v1
	v_mul_lo_u32 v9, v1, s1
	v_mul_lo_u32 v11, v10, s12
	;; [unrolled: 1-line block ×3, first 2 shown]
	v_add3_u32 v0, v5, v0, v7
	v_sub_u32_e32 v4, v4, v9
	v_mul_lo_u32 v9, v4, s14
	v_mul_lo_u32 v4, v4, s15
	v_add3_u32 v2, v6, v2, v3
	v_add3_u32 v0, v11, v0, v9
	;; [unrolled: 1-line block ×3, first 2 shown]
	s_cbranch_scc0 .LBB19_280
	s_branch .LBB19_287
.LBB19_281:
	s_or_b64 exec, exec, s[56:57]
	s_mov_b64 s[2:3], 0
	s_and_saveexec_b64 s[8:9], s[54:55]
	s_cbranch_execnz .LBB19_942
.LBB19_282:
	s_or_b64 exec, exec, s[8:9]
	s_and_saveexec_b64 s[8:9], s[60:61]
	s_xor_b64 s[8:9], exec, s[8:9]
	s_cbranch_execz .LBB19_943
.LBB19_283:
	global_load_ubyte v3, v[1:2], off
	s_or_b64 s[0:1], s[0:1], exec
	s_waitcnt vmcnt(0)
	v_cmp_ne_u16_e32 vcc, 0, v3
	v_cndmask_b32_e64 v5, 0, 1.0, vcc
	s_or_b64 exec, exec, s[8:9]
	s_and_saveexec_b64 s[8:9], s[10:11]
	s_cbranch_execz .LBB19_989
	s_branch .LBB19_944
.LBB19_284:
                                        ; implicit-def: $vgpr0
                                        ; implicit-def: $vgpr2
	s_andn2_b64 vcc, exec, s[0:1]
	s_cbranch_vccz .LBB19_291
	s_branch .LBB19_293
.LBB19_285:
	v_mov_b32_e32 v0, 0
	v_mov_b32_e32 v2, 0
	s_branch .LBB19_290
.LBB19_286:
	s_mov_b32 s64, 0
	v_mov_b32_e32 v0, 0
	v_mov_b32_e32 v2, 0
	;; [unrolled: 1-line block ×3, first 2 shown]
.LBB19_287:
	s_and_b32 s8, s65, 3
	s_cmp_eq_u32 s8, 0
	s_cbranch_scc1 .LBB19_290
; %bb.288:
	s_lshl_b32 s0, s64, 3
	s_add_u32 s0, s34, s0
	s_addc_u32 s1, s35, 0
	s_add_u32 s0, s0, 0xc4
	s_addc_u32 s1, s1, 0
	s_mul_i32 s2, s64, 12
	s_add_u32 s2, s34, s2
	s_addc_u32 s3, s35, 0
.LBB19_289:                             ; =>This Inner Loop Header: Depth=1
	s_load_dwordx2 s[10:11], s[2:3], 0x4
	s_load_dword s9, s[2:3], 0xc
	s_load_dwordx2 s[12:13], s[0:1], 0x0
	s_add_u32 s2, s2, 12
	s_addc_u32 s3, s3, 0
	s_waitcnt vmcnt(0) lgkmcnt(0)
	v_mul_hi_u32 v3, s11, v1
	s_add_u32 s0, s0, 8
	s_addc_u32 s1, s1, 0
	s_add_i32 s8, s8, -1
	v_add_u32_e32 v3, v1, v3
	v_lshrrev_b32_e32 v4, s9, v3
	v_mul_lo_u32 v3, v4, s10
	s_cmp_lg_u32 s8, 0
	v_sub_u32_e32 v3, v1, v3
	v_mad_u64_u32 v[0:1], s[10:11], v3, s12, v[0:1]
	v_mad_u64_u32 v[2:3], s[10:11], v3, s13, v[2:3]
	v_mov_b32_e32 v1, v4
	s_cbranch_scc1 .LBB19_289
.LBB19_290:
	s_cbranch_execnz .LBB19_293
.LBB19_291:
	s_waitcnt lgkmcnt(0)
	v_mul_hi_u32 v0, s37, v8
	s_andn2_b64 vcc, exec, s[46:47]
	v_add_u32_e32 v0, v8, v0
	v_lshrrev_b32_e32 v1, s38, v0
	v_mul_lo_u32 v0, v1, s36
	v_sub_u32_e32 v2, v8, v0
	v_mul_lo_u32 v0, v2, s28
	v_mul_lo_u32 v2, v2, s29
	s_cbranch_vccnz .LBB19_293
; %bb.292:
	s_waitcnt vmcnt(0)
	v_mul_hi_u32 v3, s44, v1
	v_add_u32_e32 v3, v1, v3
	v_lshrrev_b32_e32 v3, s45, v3
	v_mul_lo_u32 v3, v3, s39
	v_sub_u32_e32 v3, v1, v3
	v_mad_u64_u32 v[0:1], s[0:1], v3, s30, v[0:1]
	v_mad_u64_u32 v[2:3], s[0:1], v3, s31, v[2:3]
.LBB19_293:
	s_waitcnt vmcnt(0) lgkmcnt(0)
	v_mov_b32_e32 v3, s27
	s_and_b32 s12, 0xffff, s74
	v_add_co_u32_e32 v1, vcc, s26, v2
	s_cmp_lt_i32 s12, 11
	v_addc_co_u32_e32 v2, vcc, 0, v3, vcc
	s_cbranch_scc1 .LBB19_300
; %bb.294:
	s_cmp_gt_i32 s12, 25
	s_cbranch_scc0 .LBB19_317
; %bb.295:
	s_cmp_gt_i32 s12, 28
	s_cbranch_scc0 .LBB19_319
	;; [unrolled: 3-line block ×4, first 2 shown]
; %bb.298:
	s_cmp_eq_u32 s12, 46
	s_mov_b64 s[8:9], 0
	s_cbranch_scc0 .LBB19_329
; %bb.299:
	global_load_dword v3, v[1:2], off
	s_mov_b64 s[0:1], -1
	s_mov_b64 s[2:3], 0
	s_waitcnt vmcnt(0)
	v_lshlrev_b32_e32 v3, 16, v3
	s_branch .LBB19_330
.LBB19_300:
	s_mov_b64 s[0:1], 0
                                        ; implicit-def: $vgpr3
	s_mov_b64 s[2:3], s[54:55]
	s_cbranch_execnz .LBB19_507
.LBB19_301:
	s_andn2_b64 vcc, exec, s[0:1]
	s_cbranch_vccnz .LBB19_555
.LBB19_302:
	s_waitcnt vmcnt(0)
	v_cmp_neq_f32_e32 vcc, 0, v3
	v_mov_b32_e32 v1, 0x7f800000
	s_and_saveexec_b64 s[8:9], vcc
	s_cbranch_execz .LBB19_310
; %bb.303:
	v_cmp_ngt_f32_e32 vcc, 0, v3
	v_mov_b32_e32 v1, 0x7fc00000
	s_and_saveexec_b64 s[10:11], vcc
	s_cbranch_execz .LBB19_309
; %bb.304:
	v_cmp_ge_f32_e32 vcc, 2.0, v3
                                        ; implicit-def: $vgpr1
	s_and_saveexec_b64 s[0:1], vcc
	s_xor_b64 s[12:13], exec, s[0:1]
	s_cbranch_execz .LBB19_306
; %bb.305:
	v_fma_f32 v1, v3, v3, -2.0
	v_mov_b32_e32 v2, 0x293fd856
	v_fmac_f32_e32 v2, 0x251e770f, v1
	v_mov_b32_e32 v4, 0xa51e770f
	v_fmac_f32_e32 v4, v1, v2
	v_add_f32_e32 v4, 0x2d3612e2, v4
	v_fma_f32 v2, v1, v4, -v2
	v_add_f32_e32 v2, 0x3102e09b, v2
	v_fma_f32 v4, v1, v2, -v4
	;; [unrolled: 2-line block ×7, first 2 shown]
	v_mul_f32_e32 v4, 0.5, v3
	s_mov_b32 s0, 0x800000
	v_cmp_gt_f32_e32 vcc, s0, v4
	v_cndmask_b32_e64 v5, 0, 32, vcc
	v_ldexp_f32 v4, v4, v5
	v_log_f32_e32 v4, v4
	v_add_f32_e32 v1, 0xbf090b37, v1
	v_sub_f32_e32 v1, v1, v2
	s_mov_b32 s0, 0x3f317217
	v_mul_f32_e32 v2, 0x3f317217, v4
	v_fma_f32 v2, v4, s0, -v2
	v_fmac_f32_e32 v2, 0x3377d1cf, v4
	s_mov_b32 s0, 0x7f800000
	v_fmac_f32_e32 v2, 0x3f317217, v4
	v_cmp_lt_f32_e64 s[0:1], |v4|, s0
	v_cndmask_b32_e64 v2, v4, v2, s[0:1]
	v_mul_f32_e32 v4, 0x3fb8aa3b, v3
	s_mov_b32 s0, 0x3fb8aa3b
	v_rndne_f32_e32 v5, v4
	v_sub_f32_e32 v6, v4, v5
	v_fma_f32 v4, v3, s0, -v4
	v_fmac_f32_e32 v4, 0x32a5705f, v3
	v_add_f32_e32 v4, v6, v4
	v_exp_f32_e32 v4, v4
	v_cvt_i32_f32_e32 v5, v5
	v_mov_b32_e32 v6, 0x41b17218
	s_mov_b32 s0, 0xc2ce8ed0
	v_cndmask_b32_e32 v6, 0, v6, vcc
	v_ldexp_f32 v4, v4, v5
	v_cmp_ngt_f32_e32 vcc, s0, v3
	s_mov_b32 s0, 0x42b17218
	v_cndmask_b32_e32 v4, 0, v4, vcc
	v_mov_b32_e32 v5, 0x7f800000
	v_cmp_nlt_f32_e32 vcc, s0, v3
	v_cndmask_b32_e32 v4, v5, v4, vcc
	v_fma_f32 v3, v3, 0.5, -2.0
	v_mov_b32_e32 v5, 0x24199b15
	v_sub_f32_e32 v2, v2, v6
	v_fmac_f32_e32 v5, 0xa2a2e5b9, v3
	v_mov_b32_e32 v6, 0x22a2e5b9
	v_fmac_f32_e32 v6, v3, v5
	v_add_f32_e32 v6, 0xa58c275c, v6
	v_fma_f32 v5, v3, v6, -v5
	v_add_f32_e32 v5, 0x26f736c5, v5
	v_fma_f32 v6, v3, v5, -v6
	;; [unrolled: 2-line block ×27, first 2 shown]
	v_add_f32_e32 v3, 0x3f2d4275, v3
	v_sub_f32_e32 v3, v3, v5
	v_mul_f32_e32 v3, 0.5, v3
	v_mul_f32_e32 v3, v4, v3
	v_mul_f32_e32 v2, v2, v3
	v_fma_f32 v1, v1, 0.5, -v2
	v_mul_f32_e32 v1, v4, v1
                                        ; implicit-def: $vgpr3
.LBB19_306:
	s_andn2_saveexec_b64 s[12:13], s[12:13]
	s_cbranch_execz .LBB19_308
; %bb.307:
	s_mov_b32 s14, 0x41000000
	v_div_scale_f32 v1, s[0:1], v3, v3, s14
	v_div_scale_f32 v2, vcc, s14, v3, s14
	s_mov_b32 s0, 0xf800000
	v_mul_f32_e32 v4, 0x4f800000, v3
	v_cmp_gt_f32_e64 s[0:1], s0, v3
	v_cndmask_b32_e64 v4, v3, v4, s[0:1]
	v_sqrt_f32_e32 v6, v4
	v_add_u32_e32 v10, 1, v6
	v_fma_f32 v12, -v10, v6, v4
	v_rcp_f32_e32 v5, v1
	v_fma_f32 v7, -v1, v5, 1.0
	v_fmac_f32_e32 v5, v7, v5
	v_mul_f32_e32 v7, v2, v5
	v_fma_f32 v9, -v1, v7, v2
	v_fmac_f32_e32 v7, v9, v5
	v_fma_f32 v1, -v1, v7, v2
	v_div_fmas_f32 v1, v1, v5, v7
	v_mov_b32_e32 v2, 0xa397f665
	v_mov_b32_e32 v5, 0xa2c38d2e
	v_add_u32_e32 v9, -1, v6
	v_fma_f32 v11, -v9, v6, v4
	v_cmp_ge_f32_e32 vcc, 0, v11
	v_cndmask_b32_e32 v6, v6, v9, vcc
	v_cmp_lt_f32_e32 vcc, 0, v12
	v_cndmask_b32_e32 v6, v6, v10, vcc
	v_mov_b32_e32 v7, 0x260
	v_mul_f32_e32 v9, 0x37800000, v6
	v_cndmask_b32_e64 v6, v6, v9, s[0:1]
	v_cmp_class_f32_e32 vcc, v4, v7
	v_cndmask_b32_e32 v4, v6, v4, vcc
	v_div_fixup_f32 v1, v1, v3, s14
	v_add_f32_e32 v1, -2.0, v1
	v_fmac_f32_e32 v2, 0x22c38d2e, v1
	v_fmac_f32_e32 v5, v1, v2
	v_add_f32_e32 v3, 0x24704972, v5
	v_fma_f32 v2, v1, v3, -v2
	v_add_f32_e32 v2, 0xa5417ca4, v2
	v_fma_f32 v3, v1, v2, -v3
	;; [unrolled: 2-line block ×22, first 2 shown]
	v_add_f32_e32 v1, 0x401c2ded, v1
	v_sub_f32_e32 v1, v1, v3
	v_mul_f32_e32 v1, 0.5, v1
	v_div_scale_f32 v2, s[0:1], v4, v4, v1
	v_div_scale_f32 v3, vcc, v1, v4, v1
	v_rcp_f32_e32 v5, v2
	v_fma_f32 v6, -v2, v5, 1.0
	v_fmac_f32_e32 v5, v6, v5
	v_mul_f32_e32 v6, v3, v5
	v_fma_f32 v7, -v2, v6, v3
	v_fmac_f32_e32 v6, v7, v5
	v_fma_f32 v2, -v2, v6, v3
	v_div_fmas_f32 v2, v2, v5, v6
	v_div_fixup_f32 v1, v2, v4, v1
.LBB19_308:
	s_or_b64 exec, exec, s[12:13]
.LBB19_309:
	s_or_b64 exec, exec, s[10:11]
.LBB19_310:
	s_or_b64 exec, exec, s[8:9]
	v_mov_b32_e32 v2, s25
	s_and_b32 s14, s73, 0xff
	v_add_co_u32_e32 v3, vcc, s24, v0
	s_cmp_lt_i32 s14, 11
	v_addc_co_u32_e32 v4, vcc, 0, v2, vcc
	s_cbranch_scc1 .LBB19_318
; %bb.311:
	s_and_b32 s15, 0xffff, s14
	s_cmp_gt_i32 s15, 25
	s_cbranch_scc0 .LBB19_320
; %bb.312:
	s_cmp_gt_i32 s15, 28
	s_cbranch_scc0 .LBB19_322
; %bb.313:
	;; [unrolled: 3-line block ×4, first 2 shown]
	s_mov_b64 s[10:11], 0
	s_mov_b64 s[0:1], -1
	s_cmp_eq_u32 s15, 46
	s_mov_b64 s[8:9], 0
	s_cbranch_scc0 .LBB19_334
; %bb.316:
	v_bfe_u32 v0, v1, 16, 1
	s_movk_i32 s0, 0x7fff
	v_add3_u32 v0, v1, v0, s0
	v_cmp_o_f32_e32 vcc, v1, v1
	v_mov_b32_e32 v2, 0x7fc0
	v_cndmask_b32_sdwa v0, v2, v0, vcc dst_sel:DWORD dst_unused:UNUSED_PAD src0_sel:DWORD src1_sel:WORD_1
	global_store_dword v[3:4], v0, off
	s_mov_b64 s[8:9], -1
	s_mov_b64 s[0:1], 0
	s_branch .LBB19_334
.LBB19_317:
	s_mov_b64 s[8:9], -1
	s_mov_b64 s[0:1], 0
	s_mov_b64 s[2:3], s[54:55]
                                        ; implicit-def: $vgpr3
	s_branch .LBB19_471
.LBB19_318:
	s_mov_b64 s[10:11], -1
	s_mov_b64 s[8:9], 0
	s_mov_b64 s[0:1], s[52:53]
	s_branch .LBB19_403
.LBB19_319:
	s_mov_b64 s[8:9], -1
	s_mov_b64 s[0:1], 0
	s_mov_b64 s[2:3], s[54:55]
                                        ; implicit-def: $vgpr3
	s_branch .LBB19_452
.LBB19_320:
	s_mov_b64 s[10:11], -1
	s_mov_b64 s[8:9], 0
	s_mov_b64 s[0:1], s[52:53]
	s_branch .LBB19_361
.LBB19_321:
	s_mov_b64 s[8:9], -1
	s_mov_b64 s[0:1], 0
	s_mov_b64 s[2:3], s[54:55]
                                        ; implicit-def: $vgpr3
	s_branch .LBB19_447
.LBB19_322:
	s_mov_b64 s[10:11], -1
	s_mov_b64 s[8:9], 0
	s_mov_b64 s[0:1], s[52:53]
	s_branch .LBB19_344
.LBB19_323:
	s_andn2_saveexec_b64 s[12:13], s[12:13]
	s_cbranch_execz .LBB19_76
.LBB19_324:
	s_mov_b32 s16, 0x46000000
	v_add_f32_e64 v0, |v1|, s16
	v_and_b32_e32 v0, 0xff, v0
	v_cmp_ne_u32_e32 vcc, 0, v0
	s_andn2_b64 s[10:11], s[10:11], exec
	s_and_b64 s[16:17], vcc, exec
	s_or_b64 s[10:11], s[10:11], s[16:17]
	s_or_b64 exec, exec, s[12:13]
	v_mov_b32_e32 v2, 0
	s_and_saveexec_b64 s[12:13], s[10:11]
	s_cbranch_execnz .LBB19_77
	s_branch .LBB19_78
.LBB19_325:
	s_mov_b64 s[8:9], -1
	s_mov_b64 s[0:1], 0
	s_mov_b64 s[2:3], s[54:55]
                                        ; implicit-def: $vgpr3
	s_branch .LBB19_330
.LBB19_326:
	s_mov_b64 s[10:11], -1
	s_mov_b64 s[8:9], 0
	s_mov_b64 s[0:1], s[52:53]
	s_branch .LBB19_340
.LBB19_327:
	s_andn2_saveexec_b64 s[12:13], s[12:13]
	s_cbranch_execz .LBB19_89
.LBB19_328:
	s_mov_b32 s16, 0x42800000
	v_add_f32_e64 v0, |v1|, s16
	v_and_b32_e32 v0, 0xff, v0
	v_cmp_ne_u32_e32 vcc, 0, v0
	s_andn2_b64 s[10:11], s[10:11], exec
	s_and_b64 s[16:17], vcc, exec
	s_or_b64 s[10:11], s[10:11], s[16:17]
	s_or_b64 exec, exec, s[12:13]
	v_mov_b32_e32 v2, 0
	s_and_saveexec_b64 s[12:13], s[10:11]
	s_cbranch_execnz .LBB19_90
	s_branch .LBB19_91
.LBB19_329:
	s_mov_b64 s[2:3], -1
                                        ; implicit-def: $vgpr3
	s_mov_b64 s[0:1], 0
.LBB19_330:
	s_and_b64 vcc, exec, s[8:9]
	s_cbranch_vccz .LBB19_446
; %bb.331:
	s_cmp_eq_u32 s12, 44
	s_cbranch_scc0 .LBB19_445
; %bb.332:
	global_load_ubyte v3, v[1:2], off
	s_movk_i32 s2, 0xff
	v_mov_b32_e32 v4, 0x7f800001
	v_mov_b32_e32 v5, 0x400000
	s_mov_b64 s[0:1], -1
	s_waitcnt vmcnt(0)
	v_lshlrev_b32_e32 v6, 23, v3
	v_cmp_ne_u32_e32 vcc, s2, v3
	v_cndmask_b32_e32 v4, v4, v6, vcc
	v_cmp_ne_u32_e32 vcc, 0, v3
	v_cndmask_b32_e32 v3, v5, v4, vcc
	s_mov_b64 s[2:3], 0
	s_branch .LBB19_446
.LBB19_333:
	s_mov_b64 s[10:11], -1
	s_mov_b64 s[8:9], 0
	s_mov_b64 s[0:1], s[52:53]
.LBB19_334:
	s_and_b64 vcc, exec, s[10:11]
	s_cbranch_vccz .LBB19_339
; %bb.335:
	s_cmp_eq_u32 s15, 44
	s_mov_b64 s[0:1], -1
	s_cbranch_scc0 .LBB19_339
; %bb.336:
	v_bfe_u32 v0, v1, 23, 8
	s_movk_i32 s0, 0xff
	v_cmp_ne_u32_e32 vcc, s0, v0
	v_mov_b32_e32 v2, 0xff
	s_and_saveexec_b64 s[8:9], vcc
; %bb.337:
	s_mov_b32 s0, 0x3fffff
	v_and_b32_e32 v5, 0x400000, v1
	v_and_or_b32 v0, v1, s0, v0
	v_cmp_ne_u32_e32 vcc, 0, v5
	v_cmp_ne_u32_e64 s[0:1], 0, v0
	s_and_b64 s[0:1], vcc, s[0:1]
	v_lshrrev_b32_e32 v2, 23, v1
	v_cndmask_b32_e64 v0, 0, 1, s[0:1]
	v_add_u32_e32 v2, v2, v0
; %bb.338:
	s_or_b64 exec, exec, s[8:9]
	s_mov_b64 s[8:9], -1
	s_mov_b64 s[0:1], 0
	global_store_byte v[3:4], v2, off
.LBB19_339:
	s_mov_b64 s[10:11], 0
.LBB19_340:
	s_and_b64 vcc, exec, s[10:11]
	s_cbranch_vccz .LBB19_343
; %bb.341:
	s_cmp_eq_u32 s15, 29
	s_mov_b64 s[0:1], -1
	s_cbranch_scc0 .LBB19_343
; %bb.342:
	v_trunc_f32_e32 v0, v1
	v_mul_f32_e32 v2, 0x2f800000, v0
	v_floor_f32_e32 v2, v2
	v_fmac_f32_e32 v0, 0xcf800000, v2
	v_cvt_u32_f32_e32 v6, v2
	v_cvt_u32_f32_e32 v5, v0
	s_mov_b64 s[8:9], -1
	s_mov_b64 s[0:1], 0
	s_mov_b64 s[10:11], 0
	global_store_dwordx2 v[3:4], v[5:6], off
	s_branch .LBB19_344
.LBB19_343:
	s_mov_b64 s[10:11], 0
.LBB19_344:
	s_and_b64 vcc, exec, s[10:11]
	s_cbranch_vccz .LBB19_360
; %bb.345:
	s_cmp_lt_i32 s15, 27
	s_mov_b64 s[8:9], -1
	s_cbranch_scc1 .LBB19_351
; %bb.346:
	v_cvt_u32_f32_e32 v0, v1
	s_cmp_gt_i32 s15, 27
	s_cbranch_scc0 .LBB19_348
; %bb.347:
	s_mov_b64 s[8:9], 0
	global_store_dword v[3:4], v0, off
.LBB19_348:
	s_andn2_b64 vcc, exec, s[8:9]
	s_cbranch_vccnz .LBB19_350
; %bb.349:
	global_store_short v[3:4], v0, off
.LBB19_350:
	s_mov_b64 s[8:9], 0
.LBB19_351:
	s_andn2_b64 vcc, exec, s[8:9]
	s_cbranch_vccnz .LBB19_359
; %bb.352:
	v_and_b32_e32 v0, 0x7fffffff, v1
	s_mov_b32 s8, 0x43800000
	v_cmp_gt_u32_e32 vcc, s8, v0
	v_mov_b32_e32 v2, 0x80
	s_and_saveexec_b64 s[8:9], vcc
	s_cbranch_execz .LBB19_358
; %bb.353:
	s_mov_b32 s10, 0x3bffffff
	v_cmp_lt_u32_e32 vcc, s10, v0
	s_mov_b64 s[10:11], 0
                                        ; implicit-def: $vgpr0
	s_and_saveexec_b64 s[12:13], vcc
	s_xor_b64 s[12:13], exec, s[12:13]
	s_cbranch_execz .LBB19_586
; %bb.354:
	v_bfe_u32 v0, v1, 20, 1
	s_mov_b32 s16, 0x487ffff
	v_add3_u32 v0, v1, v0, s16
	s_mov_b64 s[10:11], exec
	v_lshrrev_b32_e32 v0, 20, v0
	s_andn2_saveexec_b64 s[12:13], s[12:13]
	s_cbranch_execnz .LBB19_587
.LBB19_355:
	s_or_b64 exec, exec, s[12:13]
	v_mov_b32_e32 v2, 0
	s_and_saveexec_b64 s[12:13], s[10:11]
.LBB19_356:
	v_lshrrev_b32_e32 v2, 24, v1
	s_movk_i32 s10, 0x80
	v_and_or_b32 v2, v2, s10, v0
.LBB19_357:
	s_or_b64 exec, exec, s[12:13]
.LBB19_358:
	s_or_b64 exec, exec, s[8:9]
	global_store_byte v[3:4], v2, off
.LBB19_359:
	s_mov_b64 s[8:9], -1
.LBB19_360:
	s_mov_b64 s[10:11], 0
.LBB19_361:
	s_and_b64 vcc, exec, s[10:11]
	s_cbranch_vccz .LBB19_402
; %bb.362:
	s_cmp_gt_i32 s15, 22
	s_mov_b64 s[10:11], -1
	s_cbranch_scc0 .LBB19_394
; %bb.363:
	s_cmp_lt_i32 s15, 24
	s_mov_b64 s[8:9], -1
	s_cbranch_scc1 .LBB19_383
; %bb.364:
	s_cmp_gt_i32 s15, 24
	s_cbranch_scc0 .LBB19_372
; %bb.365:
	v_and_b32_e32 v0, 0x7fffffff, v1
	s_mov_b32 s8, 0x47800000
	v_cmp_gt_u32_e32 vcc, s8, v0
	v_mov_b32_e32 v2, 0x80
	s_and_saveexec_b64 s[8:9], vcc
	s_cbranch_execz .LBB19_371
; %bb.366:
	s_mov_b32 s10, 0x37ffffff
	v_cmp_lt_u32_e32 vcc, s10, v0
	s_mov_b64 s[10:11], 0
                                        ; implicit-def: $vgpr0
	s_and_saveexec_b64 s[12:13], vcc
	s_xor_b64 s[12:13], exec, s[12:13]
	s_cbranch_execz .LBB19_589
; %bb.367:
	v_bfe_u32 v0, v1, 21, 1
	s_mov_b32 s16, 0x88fffff
	v_add3_u32 v0, v1, v0, s16
	s_mov_b64 s[10:11], exec
	v_lshrrev_b32_e32 v0, 21, v0
	s_andn2_saveexec_b64 s[12:13], s[12:13]
	s_cbranch_execnz .LBB19_590
.LBB19_368:
	s_or_b64 exec, exec, s[12:13]
	v_mov_b32_e32 v2, 0
	s_and_saveexec_b64 s[12:13], s[10:11]
.LBB19_369:
	v_lshrrev_b32_e32 v2, 24, v1
	s_movk_i32 s10, 0x80
	v_and_or_b32 v2, v2, s10, v0
.LBB19_370:
	s_or_b64 exec, exec, s[12:13]
.LBB19_371:
	s_or_b64 exec, exec, s[8:9]
	s_mov_b64 s[8:9], 0
	global_store_byte v[3:4], v2, off
.LBB19_372:
	s_and_b64 vcc, exec, s[8:9]
	s_cbranch_vccz .LBB19_382
; %bb.373:
	v_and_b32_e32 v2, 0x7fffffff, v1
	s_mov_b32 s8, 0x43f00000
	v_cmp_gt_u32_e32 vcc, s8, v2
                                        ; implicit-def: $vgpr0
	s_and_saveexec_b64 s[8:9], vcc
	s_xor_b64 s[8:9], exec, s[8:9]
	s_cbranch_execz .LBB19_379
; %bb.374:
	s_mov_b32 s10, 0x3c7fffff
	v_cmp_lt_u32_e32 vcc, s10, v2
                                        ; implicit-def: $vgpr0
	s_and_saveexec_b64 s[10:11], vcc
	s_xor_b64 s[10:11], exec, s[10:11]
; %bb.375:
	v_bfe_u32 v0, v1, 20, 1
	s_mov_b32 s12, 0x407ffff
	v_add3_u32 v0, v1, v0, s12
	v_lshrrev_b32_e32 v2, 20, v0
	v_and_b32_e32 v0, 0xff00000, v0
	s_mov_b32 s12, 0x7f00000
	v_mov_b32_e32 v5, 0x7e
	v_cmp_ne_u32_e32 vcc, s12, v0
	v_cndmask_b32_e32 v0, v5, v2, vcc
; %bb.376:
	s_andn2_saveexec_b64 s[10:11], s[10:11]
; %bb.377:
	s_mov_b32 s12, 0x46800000
	v_add_f32_e64 v0, |v1|, s12
; %bb.378:
	s_or_b64 exec, exec, s[10:11]
                                        ; implicit-def: $vgpr2
.LBB19_379:
	s_andn2_saveexec_b64 s[8:9], s[8:9]
; %bb.380:
	s_mov_b32 s10, 0x7f800000
	v_mov_b32_e32 v0, 0x7e
	v_mov_b32_e32 v5, 0x7f
	v_cmp_lt_u32_e32 vcc, s10, v2
	v_cndmask_b32_e32 v0, v0, v5, vcc
; %bb.381:
	s_or_b64 exec, exec, s[8:9]
	v_lshrrev_b32_e32 v2, 24, v1
	s_movk_i32 s8, 0x80
	v_and_or_b32 v0, v2, s8, v0
	global_store_byte v[3:4], v0, off
.LBB19_382:
	s_mov_b64 s[8:9], 0
.LBB19_383:
	s_andn2_b64 vcc, exec, s[8:9]
	s_cbranch_vccnz .LBB19_393
; %bb.384:
	v_and_b32_e32 v2, 0x7fffffff, v1
	s_mov_b32 s8, 0x47800000
	v_cmp_gt_u32_e32 vcc, s8, v2
                                        ; implicit-def: $vgpr0
	s_and_saveexec_b64 s[8:9], vcc
	s_xor_b64 s[8:9], exec, s[8:9]
	s_cbranch_execz .LBB19_390
; %bb.385:
	s_mov_b32 s10, 0x387fffff
	v_cmp_lt_u32_e32 vcc, s10, v2
                                        ; implicit-def: $vgpr0
	s_and_saveexec_b64 s[10:11], vcc
	s_xor_b64 s[10:11], exec, s[10:11]
; %bb.386:
	v_bfe_u32 v0, v1, 21, 1
	s_mov_b32 s12, 0x80fffff
	v_add3_u32 v0, v1, v0, s12
	v_lshrrev_b32_e32 v0, 21, v0
; %bb.387:
	s_andn2_saveexec_b64 s[10:11], s[10:11]
; %bb.388:
	s_mov_b32 s12, 0x43000000
	v_add_f32_e64 v0, |v1|, s12
; %bb.389:
	s_or_b64 exec, exec, s[10:11]
                                        ; implicit-def: $vgpr2
.LBB19_390:
	s_andn2_saveexec_b64 s[8:9], s[8:9]
; %bb.391:
	s_mov_b32 s10, 0x7f800000
	v_mov_b32_e32 v0, 0x7c
	v_mov_b32_e32 v5, 0x7f
	v_cmp_lt_u32_e32 vcc, s10, v2
	v_cndmask_b32_e32 v0, v0, v5, vcc
; %bb.392:
	s_or_b64 exec, exec, s[8:9]
	v_lshrrev_b32_e32 v2, 24, v1
	s_movk_i32 s8, 0x80
	v_and_or_b32 v0, v2, s8, v0
	global_store_byte v[3:4], v0, off
.LBB19_393:
	s_mov_b64 s[10:11], 0
	s_mov_b64 s[8:9], -1
.LBB19_394:
	s_andn2_b64 vcc, exec, s[10:11]
	s_cbranch_vccnz .LBB19_402
; %bb.395:
	s_cmp_gt_i32 s15, 14
	s_mov_b64 s[10:11], -1
	s_cbranch_scc0 .LBB19_399
; %bb.396:
	s_cmp_eq_u32 s15, 15
	s_mov_b64 s[0:1], -1
	s_cbranch_scc0 .LBB19_398
; %bb.397:
	v_bfe_u32 v0, v1, 16, 1
	s_movk_i32 s0, 0x7fff
	v_add3_u32 v0, v1, v0, s0
	v_cmp_o_f32_e32 vcc, v1, v1
	v_mov_b32_e32 v2, 0x7fc0
	v_cndmask_b32_sdwa v0, v2, v0, vcc dst_sel:DWORD dst_unused:UNUSED_PAD src0_sel:DWORD src1_sel:WORD_1
	global_store_short v[3:4], v0, off
	s_mov_b64 s[8:9], -1
	s_mov_b64 s[0:1], 0
.LBB19_398:
	s_mov_b64 s[10:11], 0
.LBB19_399:
	s_and_b64 vcc, exec, s[10:11]
	s_cbranch_vccz .LBB19_402
; %bb.400:
	s_cmp_eq_u32 s15, 11
	s_mov_b64 s[0:1], -1
	s_cbranch_scc0 .LBB19_402
; %bb.401:
	v_cmp_neq_f32_e32 vcc, 0, v1
	v_cndmask_b32_e64 v0, 0, 1, vcc
	s_mov_b64 s[8:9], -1
	s_mov_b64 s[0:1], 0
	global_store_byte v[3:4], v0, off
.LBB19_402:
	s_mov_b64 s[10:11], 0
.LBB19_403:
	s_and_b64 vcc, exec, s[10:11]
	s_cbranch_vccz .LBB19_442
; %bb.404:
	s_and_b32 s10, 0xffff, s14
	s_cmp_lt_i32 s10, 5
	s_mov_b64 s[8:9], -1
	s_cbranch_scc1 .LBB19_425
; %bb.405:
	s_cmp_lt_i32 s10, 8
	s_cbranch_scc1 .LBB19_415
; %bb.406:
	s_cmp_lt_i32 s10, 9
	s_cbranch_scc1 .LBB19_412
; %bb.407:
	s_cmp_gt_i32 s10, 9
	s_cbranch_scc0 .LBB19_409
; %bb.408:
	v_cvt_f64_f32_e32 v[9:10], v1
	v_mov_b32_e32 v11, 0
	v_mov_b32_e32 v12, v11
	s_mov_b64 s[8:9], 0
	global_store_dwordx4 v[3:4], v[9:12], off
.LBB19_409:
	s_andn2_b64 vcc, exec, s[8:9]
	s_cbranch_vccnz .LBB19_411
; %bb.410:
	v_mov_b32_e32 v2, 0
	global_store_dwordx2 v[3:4], v[1:2], off
.LBB19_411:
	s_mov_b64 s[8:9], 0
.LBB19_412:
	s_andn2_b64 vcc, exec, s[8:9]
	s_cbranch_vccnz .LBB19_414
; %bb.413:
	v_cvt_f16_f32_e32 v0, v1
	global_store_dword v[3:4], v0, off
.LBB19_414:
	s_mov_b64 s[8:9], 0
.LBB19_415:
	s_andn2_b64 vcc, exec, s[8:9]
	s_cbranch_vccnz .LBB19_424
; %bb.416:
	s_cmp_lt_i32 s10, 6
	s_mov_b64 s[8:9], -1
	s_cbranch_scc1 .LBB19_422
; %bb.417:
	s_cmp_gt_i32 s10, 6
	s_cbranch_scc0 .LBB19_419
; %bb.418:
	v_cvt_f64_f32_e32 v[5:6], v1
	s_mov_b64 s[8:9], 0
	global_store_dwordx2 v[3:4], v[5:6], off
.LBB19_419:
	s_andn2_b64 vcc, exec, s[8:9]
	s_cbranch_vccnz .LBB19_421
; %bb.420:
	global_store_dword v[3:4], v1, off
.LBB19_421:
	s_mov_b64 s[8:9], 0
.LBB19_422:
	s_andn2_b64 vcc, exec, s[8:9]
	s_cbranch_vccnz .LBB19_424
; %bb.423:
	v_cvt_f16_f32_e32 v0, v1
	global_store_short v[3:4], v0, off
.LBB19_424:
	s_mov_b64 s[8:9], 0
.LBB19_425:
	s_andn2_b64 vcc, exec, s[8:9]
	s_cbranch_vccnz .LBB19_441
; %bb.426:
	s_cmp_lt_i32 s10, 2
	s_mov_b64 s[8:9], -1
	s_cbranch_scc1 .LBB19_436
; %bb.427:
	s_cmp_lt_i32 s10, 3
	s_cbranch_scc1 .LBB19_433
; %bb.428:
	s_cmp_gt_i32 s10, 3
	s_cbranch_scc0 .LBB19_430
; %bb.429:
	v_trunc_f32_e32 v0, v1
	s_mov_b32 s8, 0x2f800000
	v_mul_f32_e64 v2, |v0|, s8
	v_floor_f32_e32 v2, v2
	s_mov_b32 s8, 0xcf800000
	v_cvt_u32_f32_e32 v5, v2
	v_fma_f32 v2, v2, s8, |v0|
	v_cvt_u32_f32_e32 v2, v2
	v_ashrrev_i32_e32 v0, 31, v0
	v_xor_b32_e32 v6, v5, v0
	s_mov_b64 s[8:9], 0
	v_xor_b32_e32 v2, v2, v0
	v_sub_co_u32_e32 v5, vcc, v2, v0
	v_subb_co_u32_e32 v6, vcc, v6, v0, vcc
	global_store_dwordx2 v[3:4], v[5:6], off
.LBB19_430:
	s_andn2_b64 vcc, exec, s[8:9]
	s_cbranch_vccnz .LBB19_432
; %bb.431:
	v_cvt_i32_f32_e32 v0, v1
	global_store_dword v[3:4], v0, off
.LBB19_432:
	s_mov_b64 s[8:9], 0
.LBB19_433:
	s_andn2_b64 vcc, exec, s[8:9]
	s_cbranch_vccnz .LBB19_435
; %bb.434:
	v_cvt_i32_f32_e32 v0, v1
	global_store_short v[3:4], v0, off
.LBB19_435:
	s_mov_b64 s[8:9], 0
.LBB19_436:
	s_andn2_b64 vcc, exec, s[8:9]
	s_cbranch_vccnz .LBB19_441
; %bb.437:
	s_cmp_gt_i32 s10, 0
	s_mov_b64 s[8:9], -1
	s_cbranch_scc0 .LBB19_439
; %bb.438:
	v_cvt_i32_f32_e32 v0, v1
	s_mov_b64 s[8:9], 0
	global_store_byte v[3:4], v0, off
.LBB19_439:
	s_andn2_b64 vcc, exec, s[8:9]
	s_cbranch_vccnz .LBB19_441
; %bb.440:
	v_trunc_f32_e32 v0, v1
	s_mov_b32 s8, 0x2f800000
	v_mul_f32_e64 v1, |v0|, s8
	v_floor_f32_e32 v1, v1
	s_mov_b32 s8, 0xcf800000
	v_fma_f32 v1, v1, s8, |v0|
	v_cvt_u32_f32_e32 v1, v1
	v_ashrrev_i32_e32 v0, 31, v0
	v_xor_b32_e32 v1, v1, v0
	v_sub_u32_e32 v0, v1, v0
	global_store_byte v[3:4], v0, off
.LBB19_441:
	s_mov_b64 s[8:9], -1
.LBB19_442:
	s_andn2_b64 vcc, exec, s[8:9]
	s_cbranch_vccnz .LBB19_444
; %bb.443:
	v_add_u32_e32 v8, 0x80, v8
	s_mov_b64 s[8:9], -1
	s_branch .LBB19_557
.LBB19_444:
	s_mov_b64 s[8:9], 0
	s_branch .LBB19_556
.LBB19_445:
	s_mov_b64 s[2:3], -1
                                        ; implicit-def: $vgpr3
.LBB19_446:
	s_mov_b64 s[8:9], 0
.LBB19_447:
	s_and_b64 vcc, exec, s[8:9]
	s_cbranch_vccz .LBB19_451
; %bb.448:
	s_cmp_eq_u32 s12, 29
	s_cbranch_scc0 .LBB19_450
; %bb.449:
	global_load_dwordx2 v[3:4], v[1:2], off
	s_mov_b64 s[0:1], -1
	s_mov_b64 s[2:3], 0
	s_mov_b64 s[8:9], 0
	s_waitcnt vmcnt(0)
	v_ffbh_u32_e32 v5, v4
	v_min_u32_e32 v5, 32, v5
	v_lshlrev_b64 v[3:4], v5, v[3:4]
	v_min_u32_e32 v3, 1, v3
	v_or_b32_e32 v3, v4, v3
	v_cvt_f32_u32_e32 v3, v3
	v_sub_u32_e32 v4, 32, v5
	v_ldexp_f32 v3, v3, v4
	s_branch .LBB19_452
.LBB19_450:
	s_mov_b64 s[2:3], -1
                                        ; implicit-def: $vgpr3
.LBB19_451:
	s_mov_b64 s[8:9], 0
.LBB19_452:
	s_and_b64 vcc, exec, s[8:9]
	s_cbranch_vccz .LBB19_470
; %bb.453:
	s_cmp_lt_i32 s12, 27
	s_cbranch_scc1 .LBB19_456
; %bb.454:
	s_cmp_gt_i32 s12, 27
	s_cbranch_scc0 .LBB19_457
; %bb.455:
	global_load_dword v3, v[1:2], off
	s_mov_b64 s[0:1], 0
	s_waitcnt vmcnt(0)
	v_cvt_f32_u32_e32 v3, v3
	s_branch .LBB19_458
.LBB19_456:
	s_mov_b64 s[0:1], -1
                                        ; implicit-def: $vgpr3
	s_branch .LBB19_461
.LBB19_457:
	s_mov_b64 s[0:1], -1
                                        ; implicit-def: $vgpr3
.LBB19_458:
	s_andn2_b64 vcc, exec, s[0:1]
	s_cbranch_vccnz .LBB19_460
; %bb.459:
	global_load_ushort v3, v[1:2], off
	s_waitcnt vmcnt(0)
	v_cvt_f32_u32_e32 v3, v3
.LBB19_460:
	s_mov_b64 s[0:1], 0
.LBB19_461:
	s_andn2_b64 vcc, exec, s[0:1]
	s_cbranch_vccnz .LBB19_469
; %bb.462:
	global_load_ubyte v4, v[1:2], off
	s_movk_i32 s0, 0x7f
	s_waitcnt vmcnt(0)
	v_cmp_lt_i16_e32 vcc, s0, v4
	s_mov_b64 s[0:1], 0
	s_and_saveexec_b64 s[8:9], vcc
	s_xor_b64 s[8:9], exec, s[8:9]
	s_cbranch_execz .LBB19_483
; %bb.463:
	s_movk_i32 s0, 0x80
	v_cmp_eq_u16_e32 vcc, s0, v4
	s_mov_b64 s[0:1], -1
	s_and_saveexec_b64 s[10:11], vcc
; %bb.464:
	s_xor_b64 s[0:1], exec, -1
; %bb.465:
	s_or_b64 exec, exec, s[10:11]
	s_and_b64 s[0:1], s[0:1], exec
	s_or_saveexec_b64 s[8:9], s[8:9]
	v_mov_b32_e32 v3, 0x7f800001
	s_xor_b64 exec, exec, s[8:9]
	s_cbranch_execnz .LBB19_484
.LBB19_466:
	s_or_b64 exec, exec, s[8:9]
	s_and_saveexec_b64 s[8:9], s[0:1]
	s_cbranch_execz .LBB19_468
.LBB19_467:
	v_lshlrev_b32_e32 v3, 24, v4
	v_and_b32_e32 v4, 0xffff, v4
	v_and_b32_e32 v5, 7, v4
	v_ffbh_u32_e32 v7, v5
	v_min_u32_e32 v7, 32, v7
	v_subrev_u32_e32 v9, 28, v7
	v_bfe_u32 v6, v4, 3, 4
	v_lshlrev_b32_e32 v4, v9, v4
	v_sub_u32_e32 v7, 29, v7
	v_and_b32_e32 v4, 7, v4
	v_cmp_eq_u32_e32 vcc, 0, v6
	v_cndmask_b32_e32 v6, v6, v7, vcc
	v_cndmask_b32_e32 v4, v5, v4, vcc
	v_mov_b32_e32 v5, 0x3b800000
	v_lshlrev_b32_e32 v4, 20, v4
	v_and_b32_e32 v3, 0x80000000, v3
	v_lshl_add_u32 v5, v6, 23, v5
	v_or3_b32 v3, v3, v5, v4
.LBB19_468:
	s_or_b64 exec, exec, s[8:9]
.LBB19_469:
	s_mov_b64 s[0:1], -1
.LBB19_470:
	s_mov_b64 s[8:9], 0
.LBB19_471:
	s_and_b64 vcc, exec, s[8:9]
	s_cbranch_vccz .LBB19_506
; %bb.472:
	s_cmp_gt_i32 s12, 22
	s_cbranch_scc0 .LBB19_482
; %bb.473:
	s_cmp_lt_i32 s12, 24
	s_cbranch_scc1 .LBB19_485
; %bb.474:
	s_cmp_gt_i32 s12, 24
	s_cbranch_scc0 .LBB19_486
; %bb.475:
	global_load_ubyte v4, v[1:2], off
	s_movk_i32 s0, 0x7f
	s_waitcnt vmcnt(0)
	v_cmp_lt_i16_e32 vcc, s0, v4
	s_mov_b64 s[0:1], 0
	s_and_saveexec_b64 s[8:9], vcc
	s_xor_b64 s[8:9], exec, s[8:9]
	s_cbranch_execz .LBB19_498
; %bb.476:
	s_movk_i32 s0, 0x80
	v_cmp_eq_u16_e32 vcc, s0, v4
	s_mov_b64 s[0:1], -1
	s_and_saveexec_b64 s[10:11], vcc
; %bb.477:
	s_xor_b64 s[0:1], exec, -1
; %bb.478:
	s_or_b64 exec, exec, s[10:11]
	s_and_b64 s[0:1], s[0:1], exec
	s_or_saveexec_b64 s[8:9], s[8:9]
	v_mov_b32_e32 v3, 0x7f800001
	s_xor_b64 exec, exec, s[8:9]
	s_cbranch_execnz .LBB19_499
.LBB19_479:
	s_or_b64 exec, exec, s[8:9]
	s_and_saveexec_b64 s[8:9], s[0:1]
	s_cbranch_execz .LBB19_481
.LBB19_480:
	v_lshlrev_b32_e32 v3, 24, v4
	v_and_b32_e32 v4, 0xffff, v4
	v_and_b32_e32 v5, 3, v4
	v_ffbh_u32_e32 v7, v5
	v_min_u32_e32 v7, 32, v7
	v_subrev_u32_e32 v9, 29, v7
	v_bfe_u32 v6, v4, 2, 5
	v_lshlrev_b32_e32 v4, v9, v4
	v_sub_u32_e32 v7, 30, v7
	v_and_b32_e32 v4, 3, v4
	v_cmp_eq_u32_e32 vcc, 0, v6
	v_cndmask_b32_e32 v6, v6, v7, vcc
	v_cndmask_b32_e32 v4, v5, v4, vcc
	v_mov_b32_e32 v5, 0x37800000
	v_lshlrev_b32_e32 v4, 21, v4
	v_and_b32_e32 v3, 0x80000000, v3
	v_lshl_add_u32 v5, v6, 23, v5
	v_or3_b32 v3, v3, v5, v4
.LBB19_481:
	s_or_b64 exec, exec, s[8:9]
	s_mov_b64 s[0:1], 0
	s_branch .LBB19_487
.LBB19_482:
	s_mov_b64 s[8:9], -1
                                        ; implicit-def: $vgpr3
	s_branch .LBB19_493
.LBB19_483:
	s_or_saveexec_b64 s[8:9], s[8:9]
	v_mov_b32_e32 v3, 0x7f800001
	s_xor_b64 exec, exec, s[8:9]
	s_cbranch_execz .LBB19_466
.LBB19_484:
	v_cmp_ne_u16_e32 vcc, 0, v4
	s_andn2_b64 s[0:1], s[0:1], exec
	s_and_b64 s[10:11], vcc, exec
	v_mov_b32_e32 v3, 0
	s_or_b64 s[0:1], s[0:1], s[10:11]
	s_or_b64 exec, exec, s[8:9]
	s_and_saveexec_b64 s[8:9], s[0:1]
	s_cbranch_execnz .LBB19_467
	s_branch .LBB19_468
.LBB19_485:
	s_mov_b64 s[0:1], -1
                                        ; implicit-def: $vgpr3
	s_branch .LBB19_490
.LBB19_486:
	s_mov_b64 s[0:1], -1
                                        ; implicit-def: $vgpr3
.LBB19_487:
	s_and_b64 vcc, exec, s[0:1]
	s_cbranch_vccz .LBB19_489
; %bb.488:
	global_load_ubyte v3, v[1:2], off
	s_mov_b32 s0, 0x7f800000
	s_waitcnt vmcnt(0)
	v_lshlrev_b32_e32 v3, 24, v3
	v_and_b32_e32 v4, 0x7f000000, v3
	v_ffbh_u32_e32 v5, v4
	v_min_u32_e32 v5, 32, v5
	v_sub_u32_e64 v5, v5, 4 clamp
	v_lshlrev_b32_e32 v7, v5, v4
	v_lshlrev_b32_e32 v5, 23, v5
	v_lshrrev_b32_e32 v7, 4, v7
	v_add_u32_e32 v6, 0x1000000, v4
	v_sub_u32_e32 v5, v7, v5
	v_ashrrev_i32_e32 v6, 8, v6
	v_add_u32_e32 v5, 0x3c000000, v5
	v_and_or_b32 v5, v6, s0, v5
	v_cmp_ne_u32_e32 vcc, 0, v4
	v_cndmask_b32_e32 v4, 0, v5, vcc
	s_brev_b32 s0, 1
	v_and_or_b32 v3, v3, s0, v4
.LBB19_489:
	s_mov_b64 s[0:1], 0
.LBB19_490:
	s_andn2_b64 vcc, exec, s[0:1]
	s_cbranch_vccnz .LBB19_492
; %bb.491:
	global_load_ubyte v3, v[1:2], off
	s_movk_i32 s0, 0x7f00
	s_brev_b32 s1, 16
	s_waitcnt vmcnt(0)
	v_lshlrev_b16_e32 v4, 8, v3
	v_lshlrev_b32_e32 v3, 25, v3
	v_lshrrev_b32_e32 v5, 4, v3
	v_and_or_b32 v6, v4, s0, 0.5
	v_or_b32_e32 v5, 0x70000000, v5
	v_add_f32_e32 v6, -0.5, v6
	v_mul_f32_e32 v5, 0x7800000, v5
	v_cmp_gt_u32_e32 vcc, s1, v3
	v_bfe_i32 v4, v4, 0, 16
	v_cndmask_b32_e32 v3, v5, v6, vcc
	s_brev_b32 s0, 1
	v_and_or_b32 v3, v4, s0, v3
.LBB19_492:
	s_mov_b64 s[8:9], 0
	s_mov_b64 s[0:1], -1
.LBB19_493:
	s_andn2_b64 vcc, exec, s[8:9]
	s_cbranch_vccnz .LBB19_506
; %bb.494:
	s_cmp_gt_i32 s12, 14
	s_cbranch_scc0 .LBB19_497
; %bb.495:
	s_cmp_eq_u32 s12, 15
	s_cbranch_scc0 .LBB19_500
; %bb.496:
	global_load_ushort v3, v[1:2], off
	s_mov_b64 s[0:1], -1
	s_mov_b64 s[2:3], 0
	s_waitcnt vmcnt(0)
	v_lshlrev_b32_e32 v3, 16, v3
	s_branch .LBB19_501
.LBB19_497:
	s_mov_b64 s[8:9], -1
                                        ; implicit-def: $vgpr3
	s_branch .LBB19_502
.LBB19_498:
	s_or_saveexec_b64 s[8:9], s[8:9]
	v_mov_b32_e32 v3, 0x7f800001
	s_xor_b64 exec, exec, s[8:9]
	s_cbranch_execz .LBB19_479
.LBB19_499:
	v_cmp_ne_u16_e32 vcc, 0, v4
	s_andn2_b64 s[0:1], s[0:1], exec
	s_and_b64 s[10:11], vcc, exec
	v_mov_b32_e32 v3, 0
	s_or_b64 s[0:1], s[0:1], s[10:11]
	s_or_b64 exec, exec, s[8:9]
	s_and_saveexec_b64 s[8:9], s[0:1]
	s_cbranch_execnz .LBB19_480
	s_branch .LBB19_481
.LBB19_500:
	s_mov_b64 s[2:3], -1
                                        ; implicit-def: $vgpr3
.LBB19_501:
	s_mov_b64 s[8:9], 0
.LBB19_502:
	s_and_b64 vcc, exec, s[8:9]
	s_cbranch_vccz .LBB19_506
; %bb.503:
	s_cmp_eq_u32 s12, 11
	s_cbranch_scc0 .LBB19_505
; %bb.504:
	global_load_ubyte v3, v[1:2], off
	s_mov_b64 s[0:1], -1
	s_mov_b64 s[2:3], 0
	s_waitcnt vmcnt(0)
	v_cmp_ne_u16_e32 vcc, 0, v3
	v_cndmask_b32_e64 v3, 0, 1.0, vcc
	s_branch .LBB19_506
.LBB19_505:
	s_mov_b64 s[2:3], -1
                                        ; implicit-def: $vgpr3
.LBB19_506:
	s_branch .LBB19_301
.LBB19_507:
	s_cmp_lt_i32 s12, 5
	s_cbranch_scc1 .LBB19_512
; %bb.508:
	s_cmp_lt_i32 s12, 8
	s_cbranch_scc1 .LBB19_513
; %bb.509:
	;; [unrolled: 3-line block ×3, first 2 shown]
	s_cmp_gt_i32 s12, 9
	s_cbranch_scc0 .LBB19_515
; %bb.511:
	global_load_dwordx2 v[3:4], v[1:2], off
	s_mov_b64 s[0:1], 0
	s_waitcnt vmcnt(0)
	v_cvt_f32_f64_e32 v3, v[3:4]
	s_branch .LBB19_516
.LBB19_512:
	s_mov_b64 s[0:1], -1
                                        ; implicit-def: $vgpr3
	s_branch .LBB19_534
.LBB19_513:
	s_mov_b64 s[0:1], -1
                                        ; implicit-def: $vgpr3
	s_branch .LBB19_522
.LBB19_514:
	s_mov_b64 s[0:1], -1
                                        ; implicit-def: $vgpr3
	s_branch .LBB19_519
.LBB19_515:
	s_mov_b64 s[0:1], -1
                                        ; implicit-def: $vgpr3
.LBB19_516:
	s_andn2_b64 vcc, exec, s[0:1]
	s_cbranch_vccnz .LBB19_518
; %bb.517:
	global_load_dword v3, v[1:2], off
.LBB19_518:
	s_mov_b64 s[0:1], 0
.LBB19_519:
	s_andn2_b64 vcc, exec, s[0:1]
	s_cbranch_vccnz .LBB19_521
; %bb.520:
	global_load_dword v3, v[1:2], off
	s_waitcnt vmcnt(0)
	v_cvt_f32_f16_e32 v3, v3
.LBB19_521:
	s_mov_b64 s[0:1], 0
.LBB19_522:
	s_andn2_b64 vcc, exec, s[0:1]
	s_cbranch_vccnz .LBB19_533
; %bb.523:
	s_cmp_lt_i32 s12, 6
	s_cbranch_scc1 .LBB19_526
; %bb.524:
	s_cmp_gt_i32 s12, 6
	s_cbranch_scc0 .LBB19_527
; %bb.525:
	global_load_dwordx2 v[3:4], v[1:2], off
	s_mov_b64 s[0:1], 0
	s_waitcnt vmcnt(0)
	v_cvt_f32_f64_e32 v3, v[3:4]
	s_branch .LBB19_528
.LBB19_526:
	s_mov_b64 s[0:1], -1
                                        ; implicit-def: $vgpr3
	s_branch .LBB19_531
.LBB19_527:
	s_mov_b64 s[0:1], -1
                                        ; implicit-def: $vgpr3
.LBB19_528:
	s_andn2_b64 vcc, exec, s[0:1]
	s_cbranch_vccnz .LBB19_530
; %bb.529:
	global_load_dword v3, v[1:2], off
.LBB19_530:
	s_mov_b64 s[0:1], 0
.LBB19_531:
	s_andn2_b64 vcc, exec, s[0:1]
	s_cbranch_vccnz .LBB19_533
; %bb.532:
	global_load_ushort v3, v[1:2], off
	s_waitcnt vmcnt(0)
	v_cvt_f32_f16_e32 v3, v3
.LBB19_533:
	s_mov_b64 s[0:1], 0
.LBB19_534:
	s_andn2_b64 vcc, exec, s[0:1]
	s_cbranch_vccnz .LBB19_554
; %bb.535:
	s_cmp_lt_i32 s12, 2
	s_cbranch_scc1 .LBB19_539
; %bb.536:
	s_cmp_lt_i32 s12, 3
	s_cbranch_scc1 .LBB19_540
; %bb.537:
	s_cmp_gt_i32 s12, 3
	s_cbranch_scc0 .LBB19_541
; %bb.538:
	global_load_dwordx2 v[3:4], v[1:2], off
	s_mov_b64 s[0:1], 0
	s_waitcnt vmcnt(0)
	v_xor_b32_e32 v6, v3, v4
	v_ffbh_i32_e32 v5, v4
	v_ashrrev_i32_e32 v6, 31, v6
	v_add_u32_e32 v5, -1, v5
	v_add_u32_e32 v6, 32, v6
	v_min_u32_e32 v5, v5, v6
	v_lshlrev_b64 v[3:4], v5, v[3:4]
	v_min_u32_e32 v3, 1, v3
	v_or_b32_e32 v3, v4, v3
	v_cvt_f32_i32_e32 v3, v3
	v_sub_u32_e32 v4, 32, v5
	v_ldexp_f32 v3, v3, v4
	s_branch .LBB19_542
.LBB19_539:
	s_mov_b64 s[0:1], -1
                                        ; implicit-def: $vgpr3
	s_branch .LBB19_548
.LBB19_540:
	s_mov_b64 s[0:1], -1
                                        ; implicit-def: $vgpr3
	s_branch .LBB19_545
.LBB19_541:
	s_mov_b64 s[0:1], -1
                                        ; implicit-def: $vgpr3
.LBB19_542:
	s_andn2_b64 vcc, exec, s[0:1]
	s_cbranch_vccnz .LBB19_544
; %bb.543:
	global_load_dword v3, v[1:2], off
	s_waitcnt vmcnt(0)
	v_cvt_f32_i32_e32 v3, v3
.LBB19_544:
	s_mov_b64 s[0:1], 0
.LBB19_545:
	s_andn2_b64 vcc, exec, s[0:1]
	s_cbranch_vccnz .LBB19_547
; %bb.546:
	global_load_sshort v3, v[1:2], off
	s_waitcnt vmcnt(0)
	v_cvt_f32_i32_e32 v3, v3
.LBB19_547:
	s_mov_b64 s[0:1], 0
.LBB19_548:
	s_andn2_b64 vcc, exec, s[0:1]
	s_cbranch_vccnz .LBB19_554
; %bb.549:
	s_cmp_gt_i32 s12, 0
	s_cbranch_scc0 .LBB19_551
; %bb.550:
	global_load_sbyte v3, v[1:2], off
	s_mov_b64 s[0:1], 0
	s_waitcnt vmcnt(0)
	v_cvt_f32_i32_e32 v3, v3
	s_branch .LBB19_552
.LBB19_551:
	s_mov_b64 s[0:1], -1
                                        ; implicit-def: $vgpr3
.LBB19_552:
	s_andn2_b64 vcc, exec, s[0:1]
	s_cbranch_vccnz .LBB19_554
; %bb.553:
	global_load_ubyte v1, v[1:2], off
	s_waitcnt vmcnt(0)
	v_cvt_f32_ubyte0_e32 v3, v1
.LBB19_554:
	s_branch .LBB19_302
.LBB19_555:
	s_mov_b64 s[8:9], 0
	s_mov_b64 s[0:1], s[52:53]
.LBB19_556:
                                        ; implicit-def: $vgpr8
.LBB19_557:
	s_andn2_b64 s[10:11], s[52:53], exec
	s_and_b64 s[0:1], s[0:1], exec
	s_or_b64 s[60:61], s[10:11], s[0:1]
	s_andn2_b64 s[0:1], s[54:55], exec
	s_and_b64 s[2:3], s[2:3], exec
	s_or_b64 s[58:59], s[0:1], s[2:3]
	s_orn2_b64 s[0:1], s[8:9], exec
.LBB19_558:
	s_or_b64 exec, exec, s[62:63]
	s_mov_b64 s[2:3], 0
	s_mov_b64 s[8:9], 0
	;; [unrolled: 1-line block ×3, first 2 shown]
                                        ; implicit-def: $vgpr1_vgpr2
                                        ; implicit-def: $vgpr0
                                        ; implicit-def: $vgpr5
	s_and_saveexec_b64 s[62:63], s[0:1]
	s_cbranch_execz .LBB19_941
; %bb.559:
	v_cmp_gt_i32_e32 vcc, s70, v8
	s_mov_b64 s[2:3], -1
	s_mov_b64 s[66:67], s[58:59]
	s_mov_b64 s[68:69], s[60:61]
	s_and_saveexec_b64 s[64:65], vcc
	s_cbranch_execz .LBB19_841
; %bb.560:
	s_andn2_b64 vcc, exec, s[40:41]
	s_cbranch_vccnz .LBB19_565
; %bb.561:
	s_andn2_b64 vcc, exec, s[50:51]
	s_cbranch_vccnz .LBB19_566
; %bb.562:
	s_add_i32 s76, s75, 1
	s_cmp_eq_u32 s72, 2
	s_cbranch_scc1 .LBB19_567
; %bb.563:
	s_and_b32 s71, s76, 28
	v_mov_b32_e32 v2, 0
	s_mov_b32 s77, 0
	s_mov_b64 s[66:67], s[34:35]
	s_mov_b64 s[68:69], s[48:49]
	v_mov_b32_e32 v0, 0
	v_mov_b32_e32 v1, v8
.LBB19_564:                             ; =>This Inner Loop Header: Depth=1
	s_load_dwordx8 s[16:23], s[66:67], 0x4
	s_load_dwordx4 s[0:3], s[66:67], 0x24
	s_load_dwordx8 s[8:15], s[68:69], 0x0
	s_add_u32 s66, s66, 48
	s_addc_u32 s67, s67, 0
	s_waitcnt vmcnt(0) lgkmcnt(0)
	v_mul_hi_u32 v3, s17, v1
	s_add_i32 s77, s77, 4
	s_add_u32 s68, s68, 32
	s_addc_u32 s69, s69, 0
	v_add_u32_e32 v3, v1, v3
	v_lshrrev_b32_e32 v3, s18, v3
	v_mul_lo_u32 v4, v3, s16
	v_mul_hi_u32 v5, s20, v3
	s_cmp_eq_u32 s71, s77
	v_sub_u32_e32 v1, v1, v4
	v_add_u32_e32 v4, v3, v5
	v_mul_lo_u32 v5, v1, s8
	v_mul_lo_u32 v6, v1, s9
	v_lshrrev_b32_e32 v1, s21, v4
	v_mul_lo_u32 v4, v1, s19
	v_mul_hi_u32 v7, s23, v1
	v_sub_u32_e32 v3, v3, v4
	v_add_u32_e32 v4, v1, v7
	v_lshrrev_b32_e32 v4, s0, v4
	v_mul_hi_u32 v9, s2, v4
	v_mul_lo_u32 v10, v4, s22
	v_mul_lo_u32 v7, v3, s10
	;; [unrolled: 1-line block ×3, first 2 shown]
	v_sub_u32_e32 v10, v1, v10
	v_add_u32_e32 v1, v4, v9
	v_lshrrev_b32_e32 v1, s3, v1
	v_mul_lo_u32 v9, v1, s1
	v_mul_lo_u32 v11, v10, s12
	;; [unrolled: 1-line block ×3, first 2 shown]
	v_add3_u32 v0, v5, v0, v7
	v_sub_u32_e32 v4, v4, v9
	v_mul_lo_u32 v9, v4, s14
	v_mul_lo_u32 v4, v4, s15
	v_add3_u32 v2, v6, v2, v3
	v_add3_u32 v0, v11, v0, v9
	;; [unrolled: 1-line block ×3, first 2 shown]
	s_cbranch_scc0 .LBB19_564
	s_branch .LBB19_568
.LBB19_565:
	s_mov_b64 s[0:1], -1
                                        ; implicit-def: $vgpr0
                                        ; implicit-def: $vgpr2
	s_branch .LBB19_572
.LBB19_566:
	v_mov_b32_e32 v0, 0
	v_mov_b32_e32 v2, 0
	s_branch .LBB19_571
.LBB19_567:
	s_mov_b32 s71, 0
	v_mov_b32_e32 v0, 0
	v_mov_b32_e32 v2, 0
	v_mov_b32_e32 v1, v8
.LBB19_568:
	s_and_b32 s8, s76, 3
	s_cmp_eq_u32 s8, 0
	s_cbranch_scc1 .LBB19_571
; %bb.569:
	s_lshl_b32 s0, s71, 3
	s_add_u32 s0, s34, s0
	s_addc_u32 s1, s35, 0
	s_add_u32 s0, s0, 0xc4
	s_addc_u32 s1, s1, 0
	s_mul_i32 s2, s71, 12
	s_add_u32 s2, s34, s2
	s_addc_u32 s3, s35, 0
.LBB19_570:                             ; =>This Inner Loop Header: Depth=1
	s_load_dwordx2 s[10:11], s[2:3], 0x4
	s_load_dword s9, s[2:3], 0xc
	s_load_dwordx2 s[12:13], s[0:1], 0x0
	s_add_u32 s2, s2, 12
	s_addc_u32 s3, s3, 0
	s_waitcnt vmcnt(0) lgkmcnt(0)
	v_mul_hi_u32 v3, s11, v1
	s_add_u32 s0, s0, 8
	s_addc_u32 s1, s1, 0
	s_add_i32 s8, s8, -1
	v_add_u32_e32 v3, v1, v3
	v_lshrrev_b32_e32 v4, s9, v3
	v_mul_lo_u32 v3, v4, s10
	s_cmp_lg_u32 s8, 0
	v_sub_u32_e32 v3, v1, v3
	v_mad_u64_u32 v[0:1], s[10:11], v3, s12, v[0:1]
	v_mad_u64_u32 v[2:3], s[10:11], v3, s13, v[2:3]
	v_mov_b32_e32 v1, v4
	s_cbranch_scc1 .LBB19_570
.LBB19_571:
	s_mov_b64 s[0:1], 0
.LBB19_572:
	s_andn2_b64 vcc, exec, s[0:1]
	s_cbranch_vccnz .LBB19_575
; %bb.573:
	s_waitcnt lgkmcnt(0)
	v_mul_hi_u32 v0, s37, v8
	s_andn2_b64 vcc, exec, s[46:47]
	v_add_u32_e32 v0, v8, v0
	v_lshrrev_b32_e32 v1, s38, v0
	v_mul_lo_u32 v0, v1, s36
	v_sub_u32_e32 v2, v8, v0
	v_mul_lo_u32 v0, v2, s28
	v_mul_lo_u32 v2, v2, s29
	s_cbranch_vccnz .LBB19_575
; %bb.574:
	s_waitcnt vmcnt(0)
	v_mul_hi_u32 v3, s44, v1
	v_add_u32_e32 v3, v1, v3
	v_lshrrev_b32_e32 v3, s45, v3
	v_mul_lo_u32 v3, v3, s39
	v_sub_u32_e32 v3, v1, v3
	v_mad_u64_u32 v[0:1], s[0:1], v3, s30, v[0:1]
	v_mad_u64_u32 v[2:3], s[0:1], v3, s31, v[2:3]
.LBB19_575:
	s_waitcnt vmcnt(0) lgkmcnt(0)
	v_mov_b32_e32 v3, s27
	s_and_b32 s12, 0xffff, s74
	v_add_co_u32_e32 v1, vcc, s26, v2
	s_cmp_lt_i32 s12, 11
	v_addc_co_u32_e32 v2, vcc, 0, v3, vcc
	s_cbranch_scc1 .LBB19_582
; %bb.576:
	s_cmp_gt_i32 s12, 25
	s_cbranch_scc0 .LBB19_583
; %bb.577:
	s_cmp_gt_i32 s12, 28
	s_cbranch_scc0 .LBB19_584
; %bb.578:
	s_cmp_gt_i32 s12, 43
	s_cbranch_scc0 .LBB19_585
; %bb.579:
	s_cmp_gt_i32 s12, 45
	s_cbranch_scc0 .LBB19_588
; %bb.580:
	s_cmp_eq_u32 s12, 46
	s_mov_b64 s[8:9], 0
	s_cbranch_scc0 .LBB19_591
; %bb.581:
	global_load_dword v3, v[1:2], off
	s_mov_b64 s[0:1], -1
	s_mov_b64 s[2:3], 0
	s_waitcnt vmcnt(0)
	v_lshlrev_b32_e32 v3, 16, v3
	s_branch .LBB19_592
.LBB19_582:
	s_mov_b64 s[8:9], -1
	s_mov_b64 s[0:1], 0
                                        ; implicit-def: $vgpr3
	s_mov_b64 s[2:3], s[58:59]
	s_branch .LBB19_657
.LBB19_583:
	s_mov_b64 s[8:9], -1
	s_mov_b64 s[0:1], 0
	s_mov_b64 s[2:3], s[58:59]
                                        ; implicit-def: $vgpr3
	s_branch .LBB19_621
.LBB19_584:
	s_mov_b64 s[8:9], -1
	s_mov_b64 s[0:1], 0
	s_mov_b64 s[2:3], s[58:59]
                                        ; implicit-def: $vgpr3
	s_branch .LBB19_602
.LBB19_585:
	s_mov_b64 s[8:9], -1
	s_mov_b64 s[0:1], 0
	s_mov_b64 s[2:3], s[58:59]
                                        ; implicit-def: $vgpr3
	s_branch .LBB19_597
.LBB19_586:
	s_andn2_saveexec_b64 s[12:13], s[12:13]
	s_cbranch_execz .LBB19_355
.LBB19_587:
	s_mov_b32 s16, 0x46000000
	v_add_f32_e64 v0, |v1|, s16
	v_and_b32_e32 v0, 0xff, v0
	v_cmp_ne_u32_e32 vcc, 0, v0
	s_andn2_b64 s[10:11], s[10:11], exec
	s_and_b64 s[16:17], vcc, exec
	s_or_b64 s[10:11], s[10:11], s[16:17]
	s_or_b64 exec, exec, s[12:13]
	v_mov_b32_e32 v2, 0
	s_and_saveexec_b64 s[12:13], s[10:11]
	s_cbranch_execnz .LBB19_356
	s_branch .LBB19_357
.LBB19_588:
	s_mov_b64 s[8:9], -1
	s_mov_b64 s[0:1], 0
	s_mov_b64 s[2:3], s[58:59]
                                        ; implicit-def: $vgpr3
	s_branch .LBB19_592
.LBB19_589:
	s_andn2_saveexec_b64 s[12:13], s[12:13]
	s_cbranch_execz .LBB19_368
.LBB19_590:
	s_mov_b32 s16, 0x42800000
	v_add_f32_e64 v0, |v1|, s16
	v_and_b32_e32 v0, 0xff, v0
	v_cmp_ne_u32_e32 vcc, 0, v0
	s_andn2_b64 s[10:11], s[10:11], exec
	s_and_b64 s[16:17], vcc, exec
	s_or_b64 s[10:11], s[10:11], s[16:17]
	s_or_b64 exec, exec, s[12:13]
	v_mov_b32_e32 v2, 0
	s_and_saveexec_b64 s[12:13], s[10:11]
	s_cbranch_execnz .LBB19_369
	s_branch .LBB19_370
.LBB19_591:
	s_mov_b64 s[2:3], -1
                                        ; implicit-def: $vgpr3
	s_mov_b64 s[0:1], 0
.LBB19_592:
	s_and_b64 vcc, exec, s[8:9]
	s_cbranch_vccz .LBB19_596
; %bb.593:
	s_cmp_eq_u32 s12, 44
	s_cbranch_scc0 .LBB19_595
; %bb.594:
	global_load_ubyte v3, v[1:2], off
	s_movk_i32 s2, 0xff
	v_mov_b32_e32 v4, 0x7f800001
	v_mov_b32_e32 v5, 0x400000
	s_mov_b64 s[0:1], -1
	s_waitcnt vmcnt(0)
	v_lshlrev_b32_e32 v6, 23, v3
	v_cmp_ne_u32_e32 vcc, s2, v3
	v_cndmask_b32_e32 v4, v4, v6, vcc
	v_cmp_ne_u32_e32 vcc, 0, v3
	v_cndmask_b32_e32 v3, v5, v4, vcc
	s_mov_b64 s[2:3], 0
	s_branch .LBB19_596
.LBB19_595:
	s_mov_b64 s[2:3], -1
                                        ; implicit-def: $vgpr3
.LBB19_596:
	s_mov_b64 s[8:9], 0
.LBB19_597:
	s_and_b64 vcc, exec, s[8:9]
	s_cbranch_vccz .LBB19_601
; %bb.598:
	s_cmp_eq_u32 s12, 29
	s_cbranch_scc0 .LBB19_600
; %bb.599:
	global_load_dwordx2 v[3:4], v[1:2], off
	s_mov_b64 s[0:1], -1
	s_mov_b64 s[2:3], 0
	s_mov_b64 s[8:9], 0
	s_waitcnt vmcnt(0)
	v_ffbh_u32_e32 v5, v4
	v_min_u32_e32 v5, 32, v5
	v_lshlrev_b64 v[3:4], v5, v[3:4]
	v_min_u32_e32 v3, 1, v3
	v_or_b32_e32 v3, v4, v3
	v_cvt_f32_u32_e32 v3, v3
	v_sub_u32_e32 v4, 32, v5
	v_ldexp_f32 v3, v3, v4
	s_branch .LBB19_602
.LBB19_600:
	s_mov_b64 s[2:3], -1
                                        ; implicit-def: $vgpr3
.LBB19_601:
	s_mov_b64 s[8:9], 0
.LBB19_602:
	s_and_b64 vcc, exec, s[8:9]
	s_cbranch_vccz .LBB19_620
; %bb.603:
	s_cmp_lt_i32 s12, 27
	s_cbranch_scc1 .LBB19_606
; %bb.604:
	s_cmp_gt_i32 s12, 27
	s_cbranch_scc0 .LBB19_607
; %bb.605:
	global_load_dword v3, v[1:2], off
	s_mov_b64 s[0:1], 0
	s_waitcnt vmcnt(0)
	v_cvt_f32_u32_e32 v3, v3
	s_branch .LBB19_608
.LBB19_606:
	s_mov_b64 s[0:1], -1
                                        ; implicit-def: $vgpr3
	s_branch .LBB19_611
.LBB19_607:
	s_mov_b64 s[0:1], -1
                                        ; implicit-def: $vgpr3
.LBB19_608:
	s_andn2_b64 vcc, exec, s[0:1]
	s_cbranch_vccnz .LBB19_610
; %bb.609:
	global_load_ushort v3, v[1:2], off
	s_waitcnt vmcnt(0)
	v_cvt_f32_u32_e32 v3, v3
.LBB19_610:
	s_mov_b64 s[0:1], 0
.LBB19_611:
	s_andn2_b64 vcc, exec, s[0:1]
	s_cbranch_vccnz .LBB19_619
; %bb.612:
	global_load_ubyte v4, v[1:2], off
	s_movk_i32 s0, 0x7f
	s_waitcnt vmcnt(0)
	v_cmp_lt_i16_e32 vcc, s0, v4
	s_mov_b64 s[0:1], 0
	s_and_saveexec_b64 s[8:9], vcc
	s_xor_b64 s[8:9], exec, s[8:9]
	s_cbranch_execz .LBB19_633
; %bb.613:
	s_movk_i32 s0, 0x80
	v_cmp_eq_u16_e32 vcc, s0, v4
	s_mov_b64 s[0:1], -1
	s_and_saveexec_b64 s[10:11], vcc
; %bb.614:
	s_xor_b64 s[0:1], exec, -1
; %bb.615:
	s_or_b64 exec, exec, s[10:11]
	s_and_b64 s[0:1], s[0:1], exec
	s_or_saveexec_b64 s[8:9], s[8:9]
	v_mov_b32_e32 v3, 0x7f800001
	s_xor_b64 exec, exec, s[8:9]
	s_cbranch_execnz .LBB19_634
.LBB19_616:
	s_or_b64 exec, exec, s[8:9]
	s_and_saveexec_b64 s[8:9], s[0:1]
	s_cbranch_execz .LBB19_618
.LBB19_617:
	v_lshlrev_b32_e32 v3, 24, v4
	v_and_b32_e32 v4, 0xffff, v4
	v_and_b32_e32 v5, 7, v4
	v_ffbh_u32_e32 v7, v5
	v_min_u32_e32 v7, 32, v7
	v_subrev_u32_e32 v9, 28, v7
	v_bfe_u32 v6, v4, 3, 4
	v_lshlrev_b32_e32 v4, v9, v4
	v_sub_u32_e32 v7, 29, v7
	v_and_b32_e32 v4, 7, v4
	v_cmp_eq_u32_e32 vcc, 0, v6
	v_cndmask_b32_e32 v6, v6, v7, vcc
	v_cndmask_b32_e32 v4, v5, v4, vcc
	v_mov_b32_e32 v5, 0x3b800000
	v_lshlrev_b32_e32 v4, 20, v4
	v_and_b32_e32 v3, 0x80000000, v3
	v_lshl_add_u32 v5, v6, 23, v5
	v_or3_b32 v3, v3, v5, v4
.LBB19_618:
	s_or_b64 exec, exec, s[8:9]
.LBB19_619:
	s_mov_b64 s[0:1], -1
.LBB19_620:
	s_mov_b64 s[8:9], 0
.LBB19_621:
	s_and_b64 vcc, exec, s[8:9]
	s_cbranch_vccz .LBB19_656
; %bb.622:
	s_cmp_gt_i32 s12, 22
	s_cbranch_scc0 .LBB19_632
; %bb.623:
	s_cmp_lt_i32 s12, 24
	s_cbranch_scc1 .LBB19_635
; %bb.624:
	s_cmp_gt_i32 s12, 24
	s_cbranch_scc0 .LBB19_636
; %bb.625:
	global_load_ubyte v4, v[1:2], off
	s_movk_i32 s0, 0x7f
	s_waitcnt vmcnt(0)
	v_cmp_lt_i16_e32 vcc, s0, v4
	s_mov_b64 s[0:1], 0
	s_and_saveexec_b64 s[8:9], vcc
	s_xor_b64 s[8:9], exec, s[8:9]
	s_cbranch_execz .LBB19_648
; %bb.626:
	s_movk_i32 s0, 0x80
	v_cmp_eq_u16_e32 vcc, s0, v4
	s_mov_b64 s[0:1], -1
	s_and_saveexec_b64 s[10:11], vcc
; %bb.627:
	s_xor_b64 s[0:1], exec, -1
; %bb.628:
	s_or_b64 exec, exec, s[10:11]
	s_and_b64 s[0:1], s[0:1], exec
	s_or_saveexec_b64 s[8:9], s[8:9]
	v_mov_b32_e32 v3, 0x7f800001
	s_xor_b64 exec, exec, s[8:9]
	s_cbranch_execnz .LBB19_649
.LBB19_629:
	s_or_b64 exec, exec, s[8:9]
	s_and_saveexec_b64 s[8:9], s[0:1]
	s_cbranch_execz .LBB19_631
.LBB19_630:
	v_lshlrev_b32_e32 v3, 24, v4
	v_and_b32_e32 v4, 0xffff, v4
	v_and_b32_e32 v5, 3, v4
	v_ffbh_u32_e32 v7, v5
	v_min_u32_e32 v7, 32, v7
	v_subrev_u32_e32 v9, 29, v7
	v_bfe_u32 v6, v4, 2, 5
	v_lshlrev_b32_e32 v4, v9, v4
	v_sub_u32_e32 v7, 30, v7
	v_and_b32_e32 v4, 3, v4
	v_cmp_eq_u32_e32 vcc, 0, v6
	v_cndmask_b32_e32 v6, v6, v7, vcc
	v_cndmask_b32_e32 v4, v5, v4, vcc
	v_mov_b32_e32 v5, 0x37800000
	v_lshlrev_b32_e32 v4, 21, v4
	v_and_b32_e32 v3, 0x80000000, v3
	v_lshl_add_u32 v5, v6, 23, v5
	v_or3_b32 v3, v3, v5, v4
.LBB19_631:
	s_or_b64 exec, exec, s[8:9]
	s_mov_b64 s[0:1], 0
	s_branch .LBB19_637
.LBB19_632:
	s_mov_b64 s[8:9], -1
                                        ; implicit-def: $vgpr3
	s_branch .LBB19_643
.LBB19_633:
	s_or_saveexec_b64 s[8:9], s[8:9]
	v_mov_b32_e32 v3, 0x7f800001
	s_xor_b64 exec, exec, s[8:9]
	s_cbranch_execz .LBB19_616
.LBB19_634:
	v_cmp_ne_u16_e32 vcc, 0, v4
	s_andn2_b64 s[0:1], s[0:1], exec
	s_and_b64 s[10:11], vcc, exec
	v_mov_b32_e32 v3, 0
	s_or_b64 s[0:1], s[0:1], s[10:11]
	s_or_b64 exec, exec, s[8:9]
	s_and_saveexec_b64 s[8:9], s[0:1]
	s_cbranch_execnz .LBB19_617
	s_branch .LBB19_618
.LBB19_635:
	s_mov_b64 s[0:1], -1
                                        ; implicit-def: $vgpr3
	s_branch .LBB19_640
.LBB19_636:
	s_mov_b64 s[0:1], -1
                                        ; implicit-def: $vgpr3
.LBB19_637:
	s_and_b64 vcc, exec, s[0:1]
	s_cbranch_vccz .LBB19_639
; %bb.638:
	global_load_ubyte v3, v[1:2], off
	s_mov_b32 s0, 0x7f800000
	s_waitcnt vmcnt(0)
	v_lshlrev_b32_e32 v3, 24, v3
	v_and_b32_e32 v4, 0x7f000000, v3
	v_ffbh_u32_e32 v5, v4
	v_min_u32_e32 v5, 32, v5
	v_sub_u32_e64 v5, v5, 4 clamp
	v_lshlrev_b32_e32 v7, v5, v4
	v_lshlrev_b32_e32 v5, 23, v5
	v_lshrrev_b32_e32 v7, 4, v7
	v_add_u32_e32 v6, 0x1000000, v4
	v_sub_u32_e32 v5, v7, v5
	v_ashrrev_i32_e32 v6, 8, v6
	v_add_u32_e32 v5, 0x3c000000, v5
	v_and_or_b32 v5, v6, s0, v5
	v_cmp_ne_u32_e32 vcc, 0, v4
	v_cndmask_b32_e32 v4, 0, v5, vcc
	s_brev_b32 s0, 1
	v_and_or_b32 v3, v3, s0, v4
.LBB19_639:
	s_mov_b64 s[0:1], 0
.LBB19_640:
	s_andn2_b64 vcc, exec, s[0:1]
	s_cbranch_vccnz .LBB19_642
; %bb.641:
	global_load_ubyte v3, v[1:2], off
	s_movk_i32 s0, 0x7f00
	s_brev_b32 s1, 16
	s_waitcnt vmcnt(0)
	v_lshlrev_b16_e32 v4, 8, v3
	v_lshlrev_b32_e32 v3, 25, v3
	v_lshrrev_b32_e32 v5, 4, v3
	v_and_or_b32 v6, v4, s0, 0.5
	v_or_b32_e32 v5, 0x70000000, v5
	v_add_f32_e32 v6, -0.5, v6
	v_mul_f32_e32 v5, 0x7800000, v5
	v_cmp_gt_u32_e32 vcc, s1, v3
	v_bfe_i32 v4, v4, 0, 16
	v_cndmask_b32_e32 v3, v5, v6, vcc
	s_brev_b32 s0, 1
	v_and_or_b32 v3, v4, s0, v3
.LBB19_642:
	s_mov_b64 s[8:9], 0
	s_mov_b64 s[0:1], -1
.LBB19_643:
	s_andn2_b64 vcc, exec, s[8:9]
	s_cbranch_vccnz .LBB19_656
; %bb.644:
	s_cmp_gt_i32 s12, 14
	s_cbranch_scc0 .LBB19_647
; %bb.645:
	s_cmp_eq_u32 s12, 15
	s_cbranch_scc0 .LBB19_650
; %bb.646:
	global_load_ushort v3, v[1:2], off
	s_mov_b64 s[0:1], -1
	s_mov_b64 s[2:3], 0
	s_waitcnt vmcnt(0)
	v_lshlrev_b32_e32 v3, 16, v3
	s_branch .LBB19_651
.LBB19_647:
	s_mov_b64 s[8:9], -1
                                        ; implicit-def: $vgpr3
	s_branch .LBB19_652
.LBB19_648:
	s_or_saveexec_b64 s[8:9], s[8:9]
	v_mov_b32_e32 v3, 0x7f800001
	s_xor_b64 exec, exec, s[8:9]
	s_cbranch_execz .LBB19_629
.LBB19_649:
	v_cmp_ne_u16_e32 vcc, 0, v4
	s_andn2_b64 s[0:1], s[0:1], exec
	s_and_b64 s[10:11], vcc, exec
	v_mov_b32_e32 v3, 0
	s_or_b64 s[0:1], s[0:1], s[10:11]
	s_or_b64 exec, exec, s[8:9]
	s_and_saveexec_b64 s[8:9], s[0:1]
	s_cbranch_execnz .LBB19_630
	s_branch .LBB19_631
.LBB19_650:
	s_mov_b64 s[2:3], -1
                                        ; implicit-def: $vgpr3
.LBB19_651:
	s_mov_b64 s[8:9], 0
.LBB19_652:
	s_and_b64 vcc, exec, s[8:9]
	s_cbranch_vccz .LBB19_656
; %bb.653:
	s_cmp_eq_u32 s12, 11
	s_cbranch_scc0 .LBB19_655
; %bb.654:
	global_load_ubyte v3, v[1:2], off
	s_mov_b64 s[0:1], -1
	s_mov_b64 s[2:3], 0
	s_waitcnt vmcnt(0)
	v_cmp_ne_u16_e32 vcc, 0, v3
	v_cndmask_b32_e64 v3, 0, 1.0, vcc
	s_branch .LBB19_656
.LBB19_655:
	s_mov_b64 s[2:3], -1
                                        ; implicit-def: $vgpr3
.LBB19_656:
	s_mov_b64 s[8:9], 0
.LBB19_657:
	s_and_b64 vcc, exec, s[8:9]
	s_cbranch_vccz .LBB19_706
; %bb.658:
	s_cmp_lt_i32 s12, 5
	s_cbranch_scc1 .LBB19_663
; %bb.659:
	s_cmp_lt_i32 s12, 8
	s_cbranch_scc1 .LBB19_664
	;; [unrolled: 3-line block ×3, first 2 shown]
; %bb.661:
	s_cmp_gt_i32 s12, 9
	s_cbranch_scc0 .LBB19_666
; %bb.662:
	global_load_dwordx2 v[3:4], v[1:2], off
	s_mov_b64 s[0:1], 0
	s_waitcnt vmcnt(0)
	v_cvt_f32_f64_e32 v3, v[3:4]
	s_branch .LBB19_667
.LBB19_663:
	s_mov_b64 s[0:1], -1
                                        ; implicit-def: $vgpr3
	s_branch .LBB19_685
.LBB19_664:
	s_mov_b64 s[0:1], -1
                                        ; implicit-def: $vgpr3
	s_branch .LBB19_673
.LBB19_665:
	s_mov_b64 s[0:1], -1
                                        ; implicit-def: $vgpr3
	s_branch .LBB19_670
.LBB19_666:
	s_mov_b64 s[0:1], -1
                                        ; implicit-def: $vgpr3
.LBB19_667:
	s_andn2_b64 vcc, exec, s[0:1]
	s_cbranch_vccnz .LBB19_669
; %bb.668:
	global_load_dword v3, v[1:2], off
.LBB19_669:
	s_mov_b64 s[0:1], 0
.LBB19_670:
	s_andn2_b64 vcc, exec, s[0:1]
	s_cbranch_vccnz .LBB19_672
; %bb.671:
	global_load_dword v3, v[1:2], off
	s_waitcnt vmcnt(0)
	v_cvt_f32_f16_e32 v3, v3
.LBB19_672:
	s_mov_b64 s[0:1], 0
.LBB19_673:
	s_andn2_b64 vcc, exec, s[0:1]
	s_cbranch_vccnz .LBB19_684
; %bb.674:
	s_cmp_lt_i32 s12, 6
	s_cbranch_scc1 .LBB19_677
; %bb.675:
	s_cmp_gt_i32 s12, 6
	s_cbranch_scc0 .LBB19_678
; %bb.676:
	global_load_dwordx2 v[3:4], v[1:2], off
	s_mov_b64 s[0:1], 0
	s_waitcnt vmcnt(0)
	v_cvt_f32_f64_e32 v3, v[3:4]
	s_branch .LBB19_679
.LBB19_677:
	s_mov_b64 s[0:1], -1
                                        ; implicit-def: $vgpr3
	s_branch .LBB19_682
.LBB19_678:
	s_mov_b64 s[0:1], -1
                                        ; implicit-def: $vgpr3
.LBB19_679:
	s_andn2_b64 vcc, exec, s[0:1]
	s_cbranch_vccnz .LBB19_681
; %bb.680:
	global_load_dword v3, v[1:2], off
.LBB19_681:
	s_mov_b64 s[0:1], 0
.LBB19_682:
	s_andn2_b64 vcc, exec, s[0:1]
	s_cbranch_vccnz .LBB19_684
; %bb.683:
	global_load_ushort v3, v[1:2], off
	s_waitcnt vmcnt(0)
	v_cvt_f32_f16_e32 v3, v3
.LBB19_684:
	s_mov_b64 s[0:1], 0
.LBB19_685:
	s_andn2_b64 vcc, exec, s[0:1]
	s_cbranch_vccnz .LBB19_705
; %bb.686:
	s_cmp_lt_i32 s12, 2
	s_cbranch_scc1 .LBB19_690
; %bb.687:
	s_cmp_lt_i32 s12, 3
	s_cbranch_scc1 .LBB19_691
; %bb.688:
	s_cmp_gt_i32 s12, 3
	s_cbranch_scc0 .LBB19_692
; %bb.689:
	global_load_dwordx2 v[3:4], v[1:2], off
	s_mov_b64 s[0:1], 0
	s_waitcnt vmcnt(0)
	v_xor_b32_e32 v6, v3, v4
	v_ffbh_i32_e32 v5, v4
	v_ashrrev_i32_e32 v6, 31, v6
	v_add_u32_e32 v5, -1, v5
	v_add_u32_e32 v6, 32, v6
	v_min_u32_e32 v5, v5, v6
	v_lshlrev_b64 v[3:4], v5, v[3:4]
	v_min_u32_e32 v3, 1, v3
	v_or_b32_e32 v3, v4, v3
	v_cvt_f32_i32_e32 v3, v3
	v_sub_u32_e32 v4, 32, v5
	v_ldexp_f32 v3, v3, v4
	s_branch .LBB19_693
.LBB19_690:
	s_mov_b64 s[0:1], -1
                                        ; implicit-def: $vgpr3
	s_branch .LBB19_699
.LBB19_691:
	s_mov_b64 s[0:1], -1
                                        ; implicit-def: $vgpr3
	s_branch .LBB19_696
.LBB19_692:
	s_mov_b64 s[0:1], -1
                                        ; implicit-def: $vgpr3
.LBB19_693:
	s_andn2_b64 vcc, exec, s[0:1]
	s_cbranch_vccnz .LBB19_695
; %bb.694:
	global_load_dword v3, v[1:2], off
	s_waitcnt vmcnt(0)
	v_cvt_f32_i32_e32 v3, v3
.LBB19_695:
	s_mov_b64 s[0:1], 0
.LBB19_696:
	s_andn2_b64 vcc, exec, s[0:1]
	s_cbranch_vccnz .LBB19_698
; %bb.697:
	global_load_sshort v3, v[1:2], off
	s_waitcnt vmcnt(0)
	v_cvt_f32_i32_e32 v3, v3
.LBB19_698:
	s_mov_b64 s[0:1], 0
.LBB19_699:
	s_andn2_b64 vcc, exec, s[0:1]
	s_cbranch_vccnz .LBB19_705
; %bb.700:
	s_cmp_gt_i32 s12, 0
	s_cbranch_scc0 .LBB19_702
; %bb.701:
	global_load_sbyte v3, v[1:2], off
	s_mov_b64 s[0:1], 0
	s_waitcnt vmcnt(0)
	v_cvt_f32_i32_e32 v3, v3
	s_branch .LBB19_703
.LBB19_702:
	s_mov_b64 s[0:1], -1
                                        ; implicit-def: $vgpr3
.LBB19_703:
	s_andn2_b64 vcc, exec, s[0:1]
	s_cbranch_vccnz .LBB19_705
; %bb.704:
	global_load_ubyte v1, v[1:2], off
	s_waitcnt vmcnt(0)
	v_cvt_f32_ubyte0_e32 v3, v1
.LBB19_705:
	s_mov_b64 s[0:1], -1
.LBB19_706:
	s_andn2_b64 vcc, exec, s[0:1]
	s_cbranch_vccnz .LBB19_722
; %bb.707:
	s_waitcnt vmcnt(0)
	v_cmp_neq_f32_e32 vcc, 0, v3
	v_mov_b32_e32 v1, 0x7f800000
	s_and_saveexec_b64 s[8:9], vcc
	s_cbranch_execz .LBB19_715
; %bb.708:
	v_cmp_ngt_f32_e32 vcc, 0, v3
	v_mov_b32_e32 v1, 0x7fc00000
	s_and_saveexec_b64 s[10:11], vcc
	s_cbranch_execz .LBB19_714
; %bb.709:
	v_cmp_ge_f32_e32 vcc, 2.0, v3
                                        ; implicit-def: $vgpr1
	s_and_saveexec_b64 s[0:1], vcc
	s_xor_b64 s[12:13], exec, s[0:1]
	s_cbranch_execz .LBB19_711
; %bb.710:
	v_fma_f32 v1, v3, v3, -2.0
	v_mov_b32_e32 v2, 0x293fd856
	v_fmac_f32_e32 v2, 0x251e770f, v1
	v_mov_b32_e32 v4, 0xa51e770f
	v_fmac_f32_e32 v4, v1, v2
	v_add_f32_e32 v4, 0x2d3612e2, v4
	v_fma_f32 v2, v1, v4, -v2
	v_add_f32_e32 v2, 0x3102e09b, v2
	v_fma_f32 v4, v1, v2, -v4
	v_add_f32_e32 v4, 0x348815e7, v4
	v_fma_f32 v2, v1, v4, -v2
	v_add_f32_e32 v2, 0x37bfc808, v2
	v_fma_f32 v4, v1, v2, -v4
	v_add_f32_e32 v4, 0x3aa5c174, v4
	v_fma_f32 v2, v1, v4, -v2
	v_add_f32_e32 v2, 0x3d135fb3, v2
	v_fma_f32 v4, v1, v2, -v4
	v_add_f32_e32 v4, 0x3eb046c4, v4
	v_fma_f32 v1, v1, v4, -v2
	v_mul_f32_e32 v4, 0.5, v3
	s_mov_b32 s0, 0x800000
	v_cmp_gt_f32_e32 vcc, s0, v4
	v_cndmask_b32_e64 v5, 0, 32, vcc
	v_ldexp_f32 v4, v4, v5
	v_log_f32_e32 v4, v4
	v_add_f32_e32 v1, 0xbf090b37, v1
	v_sub_f32_e32 v1, v1, v2
	s_mov_b32 s0, 0x3f317217
	v_mul_f32_e32 v2, 0x3f317217, v4
	v_fma_f32 v2, v4, s0, -v2
	v_fmac_f32_e32 v2, 0x3377d1cf, v4
	s_mov_b32 s0, 0x7f800000
	v_fmac_f32_e32 v2, 0x3f317217, v4
	v_cmp_lt_f32_e64 s[0:1], |v4|, s0
	v_cndmask_b32_e64 v2, v4, v2, s[0:1]
	v_mul_f32_e32 v4, 0x3fb8aa3b, v3
	s_mov_b32 s0, 0x3fb8aa3b
	v_rndne_f32_e32 v5, v4
	v_sub_f32_e32 v6, v4, v5
	v_fma_f32 v4, v3, s0, -v4
	v_fmac_f32_e32 v4, 0x32a5705f, v3
	v_add_f32_e32 v4, v6, v4
	v_exp_f32_e32 v4, v4
	v_cvt_i32_f32_e32 v5, v5
	v_mov_b32_e32 v6, 0x41b17218
	s_mov_b32 s0, 0xc2ce8ed0
	v_cndmask_b32_e32 v6, 0, v6, vcc
	v_ldexp_f32 v4, v4, v5
	v_cmp_ngt_f32_e32 vcc, s0, v3
	s_mov_b32 s0, 0x42b17218
	v_cndmask_b32_e32 v4, 0, v4, vcc
	v_mov_b32_e32 v5, 0x7f800000
	v_cmp_nlt_f32_e32 vcc, s0, v3
	v_cndmask_b32_e32 v4, v5, v4, vcc
	v_fma_f32 v3, v3, 0.5, -2.0
	v_mov_b32_e32 v5, 0x24199b15
	v_sub_f32_e32 v2, v2, v6
	v_fmac_f32_e32 v5, 0xa2a2e5b9, v3
	v_mov_b32_e32 v6, 0x22a2e5b9
	v_fmac_f32_e32 v6, v3, v5
	v_add_f32_e32 v6, 0xa58c275c, v6
	v_fma_f32 v5, v3, v6, -v5
	v_add_f32_e32 v5, 0x26f736c5, v5
	v_fma_f32 v6, v3, v5, -v6
	;; [unrolled: 2-line block ×27, first 2 shown]
	v_add_f32_e32 v3, 0x3f2d4275, v3
	v_sub_f32_e32 v3, v3, v5
	v_mul_f32_e32 v3, 0.5, v3
	v_mul_f32_e32 v3, v4, v3
	v_mul_f32_e32 v2, v2, v3
	v_fma_f32 v1, v1, 0.5, -v2
	v_mul_f32_e32 v1, v4, v1
                                        ; implicit-def: $vgpr3
.LBB19_711:
	s_andn2_saveexec_b64 s[12:13], s[12:13]
	s_cbranch_execz .LBB19_713
; %bb.712:
	s_mov_b32 s14, 0x41000000
	v_div_scale_f32 v1, s[0:1], v3, v3, s14
	v_div_scale_f32 v2, vcc, s14, v3, s14
	s_mov_b32 s0, 0xf800000
	v_mul_f32_e32 v4, 0x4f800000, v3
	v_cmp_gt_f32_e64 s[0:1], s0, v3
	v_cndmask_b32_e64 v4, v3, v4, s[0:1]
	v_sqrt_f32_e32 v6, v4
	v_add_u32_e32 v10, 1, v6
	v_fma_f32 v12, -v10, v6, v4
	v_rcp_f32_e32 v5, v1
	v_fma_f32 v7, -v1, v5, 1.0
	v_fmac_f32_e32 v5, v7, v5
	v_mul_f32_e32 v7, v2, v5
	v_fma_f32 v9, -v1, v7, v2
	v_fmac_f32_e32 v7, v9, v5
	v_fma_f32 v1, -v1, v7, v2
	v_div_fmas_f32 v1, v1, v5, v7
	v_mov_b32_e32 v2, 0xa397f665
	v_mov_b32_e32 v5, 0xa2c38d2e
	v_add_u32_e32 v9, -1, v6
	v_fma_f32 v11, -v9, v6, v4
	v_cmp_ge_f32_e32 vcc, 0, v11
	v_cndmask_b32_e32 v6, v6, v9, vcc
	v_cmp_lt_f32_e32 vcc, 0, v12
	v_cndmask_b32_e32 v6, v6, v10, vcc
	v_mov_b32_e32 v7, 0x260
	v_mul_f32_e32 v9, 0x37800000, v6
	v_cndmask_b32_e64 v6, v6, v9, s[0:1]
	v_cmp_class_f32_e32 vcc, v4, v7
	v_cndmask_b32_e32 v4, v6, v4, vcc
	v_div_fixup_f32 v1, v1, v3, s14
	v_add_f32_e32 v1, -2.0, v1
	v_fmac_f32_e32 v2, 0x22c38d2e, v1
	v_fmac_f32_e32 v5, v1, v2
	v_add_f32_e32 v3, 0x24704972, v5
	v_fma_f32 v2, v1, v3, -v2
	v_add_f32_e32 v2, 0xa5417ca4, v2
	v_fma_f32 v3, v1, v2, -v3
	;; [unrolled: 2-line block ×22, first 2 shown]
	v_add_f32_e32 v1, 0x401c2ded, v1
	v_sub_f32_e32 v1, v1, v3
	v_mul_f32_e32 v1, 0.5, v1
	v_div_scale_f32 v2, s[0:1], v4, v4, v1
	v_div_scale_f32 v3, vcc, v1, v4, v1
	v_rcp_f32_e32 v5, v2
	v_fma_f32 v6, -v2, v5, 1.0
	v_fmac_f32_e32 v5, v6, v5
	v_mul_f32_e32 v6, v3, v5
	v_fma_f32 v7, -v2, v6, v3
	v_fmac_f32_e32 v6, v7, v5
	v_fma_f32 v2, -v2, v6, v3
	v_div_fmas_f32 v2, v2, v5, v6
	v_div_fixup_f32 v1, v2, v4, v1
.LBB19_713:
	s_or_b64 exec, exec, s[12:13]
.LBB19_714:
	s_or_b64 exec, exec, s[10:11]
.LBB19_715:
	s_or_b64 exec, exec, s[8:9]
	v_mov_b32_e32 v2, s25
	s_and_b32 s14, s73, 0xff
	v_add_co_u32_e32 v3, vcc, s24, v0
	s_cmp_lt_i32 s14, 11
	v_addc_co_u32_e32 v4, vcc, 0, v2, vcc
	s_cbranch_scc1 .LBB19_723
; %bb.716:
	s_and_b32 s15, 0xffff, s14
	s_cmp_gt_i32 s15, 25
	s_cbranch_scc0 .LBB19_724
; %bb.717:
	s_cmp_gt_i32 s15, 28
	s_cbranch_scc0 .LBB19_725
; %bb.718:
	;; [unrolled: 3-line block ×4, first 2 shown]
	s_mov_b64 s[10:11], 0
	s_mov_b64 s[0:1], -1
	s_cmp_eq_u32 s15, 46
	s_mov_b64 s[8:9], 0
	s_cbranch_scc0 .LBB19_728
; %bb.721:
	v_bfe_u32 v0, v1, 16, 1
	s_movk_i32 s0, 0x7fff
	v_add3_u32 v0, v1, v0, s0
	v_cmp_o_f32_e32 vcc, v1, v1
	v_mov_b32_e32 v2, 0x7fc0
	v_cndmask_b32_sdwa v0, v2, v0, vcc dst_sel:DWORD dst_unused:UNUSED_PAD src0_sel:DWORD src1_sel:WORD_1
	global_store_dword v[3:4], v0, off
	s_mov_b64 s[8:9], -1
	s_mov_b64 s[0:1], 0
	s_branch .LBB19_728
.LBB19_722:
	s_mov_b64 s[8:9], 0
	s_mov_b64 s[0:1], s[60:61]
	s_branch .LBB19_839
.LBB19_723:
	s_mov_b64 s[10:11], -1
	s_mov_b64 s[8:9], 0
	s_mov_b64 s[0:1], s[60:61]
	s_branch .LBB19_797
.LBB19_724:
	s_mov_b64 s[10:11], -1
	s_mov_b64 s[8:9], 0
	s_mov_b64 s[0:1], s[60:61]
	s_branch .LBB19_755
.LBB19_725:
	s_mov_b64 s[10:11], -1
	s_mov_b64 s[8:9], 0
	s_mov_b64 s[0:1], s[60:61]
	s_branch .LBB19_738
.LBB19_726:
	s_mov_b64 s[10:11], -1
	s_mov_b64 s[8:9], 0
	s_mov_b64 s[0:1], s[60:61]
	s_branch .LBB19_734
.LBB19_727:
	s_mov_b64 s[10:11], -1
	s_mov_b64 s[8:9], 0
	s_mov_b64 s[0:1], s[60:61]
.LBB19_728:
	s_and_b64 vcc, exec, s[10:11]
	s_cbranch_vccz .LBB19_733
; %bb.729:
	s_cmp_eq_u32 s15, 44
	s_mov_b64 s[0:1], -1
	s_cbranch_scc0 .LBB19_733
; %bb.730:
	v_bfe_u32 v0, v1, 23, 8
	s_movk_i32 s0, 0xff
	v_cmp_ne_u32_e32 vcc, s0, v0
	v_mov_b32_e32 v2, 0xff
	s_and_saveexec_b64 s[8:9], vcc
; %bb.731:
	s_mov_b32 s0, 0x3fffff
	v_and_b32_e32 v5, 0x400000, v1
	v_and_or_b32 v0, v1, s0, v0
	v_cmp_ne_u32_e32 vcc, 0, v5
	v_cmp_ne_u32_e64 s[0:1], 0, v0
	s_and_b64 s[0:1], vcc, s[0:1]
	v_lshrrev_b32_e32 v2, 23, v1
	v_cndmask_b32_e64 v0, 0, 1, s[0:1]
	v_add_u32_e32 v2, v2, v0
; %bb.732:
	s_or_b64 exec, exec, s[8:9]
	s_mov_b64 s[8:9], -1
	s_mov_b64 s[0:1], 0
	global_store_byte v[3:4], v2, off
.LBB19_733:
	s_mov_b64 s[10:11], 0
.LBB19_734:
	s_and_b64 vcc, exec, s[10:11]
	s_cbranch_vccz .LBB19_737
; %bb.735:
	s_cmp_eq_u32 s15, 29
	s_mov_b64 s[0:1], -1
	s_cbranch_scc0 .LBB19_737
; %bb.736:
	v_trunc_f32_e32 v0, v1
	v_mul_f32_e32 v2, 0x2f800000, v0
	v_floor_f32_e32 v2, v2
	v_fmac_f32_e32 v0, 0xcf800000, v2
	v_cvt_u32_f32_e32 v6, v2
	v_cvt_u32_f32_e32 v5, v0
	s_mov_b64 s[8:9], -1
	s_mov_b64 s[0:1], 0
	s_mov_b64 s[10:11], 0
	global_store_dwordx2 v[3:4], v[5:6], off
	s_branch .LBB19_738
.LBB19_737:
	s_mov_b64 s[10:11], 0
.LBB19_738:
	s_and_b64 vcc, exec, s[10:11]
	s_cbranch_vccz .LBB19_754
; %bb.739:
	s_cmp_lt_i32 s15, 27
	s_mov_b64 s[8:9], -1
	s_cbranch_scc1 .LBB19_745
; %bb.740:
	v_cvt_u32_f32_e32 v0, v1
	s_cmp_gt_i32 s15, 27
	s_cbranch_scc0 .LBB19_742
; %bb.741:
	s_mov_b64 s[8:9], 0
	global_store_dword v[3:4], v0, off
.LBB19_742:
	s_andn2_b64 vcc, exec, s[8:9]
	s_cbranch_vccnz .LBB19_744
; %bb.743:
	global_store_short v[3:4], v0, off
.LBB19_744:
	s_mov_b64 s[8:9], 0
.LBB19_745:
	s_andn2_b64 vcc, exec, s[8:9]
	s_cbranch_vccnz .LBB19_753
; %bb.746:
	v_and_b32_e32 v0, 0x7fffffff, v1
	s_mov_b32 s8, 0x43800000
	v_cmp_gt_u32_e32 vcc, s8, v0
	v_mov_b32_e32 v2, 0x80
	s_and_saveexec_b64 s[8:9], vcc
	s_cbranch_execz .LBB19_752
; %bb.747:
	s_mov_b32 s10, 0x3bffffff
	v_cmp_lt_u32_e32 vcc, s10, v0
	s_mov_b64 s[10:11], 0
                                        ; implicit-def: $vgpr0
	s_and_saveexec_b64 s[12:13], vcc
	s_xor_b64 s[12:13], exec, s[12:13]
	s_cbranch_execz .LBB19_869
; %bb.748:
	v_bfe_u32 v0, v1, 20, 1
	s_mov_b32 s16, 0x487ffff
	v_add3_u32 v0, v1, v0, s16
	s_mov_b64 s[10:11], exec
	v_lshrrev_b32_e32 v0, 20, v0
	s_andn2_saveexec_b64 s[12:13], s[12:13]
	s_cbranch_execnz .LBB19_870
.LBB19_749:
	s_or_b64 exec, exec, s[12:13]
	v_mov_b32_e32 v2, 0
	s_and_saveexec_b64 s[12:13], s[10:11]
.LBB19_750:
	v_lshrrev_b32_e32 v2, 24, v1
	s_movk_i32 s10, 0x80
	v_and_or_b32 v2, v2, s10, v0
.LBB19_751:
	s_or_b64 exec, exec, s[12:13]
.LBB19_752:
	s_or_b64 exec, exec, s[8:9]
	global_store_byte v[3:4], v2, off
.LBB19_753:
	s_mov_b64 s[8:9], -1
.LBB19_754:
	s_mov_b64 s[10:11], 0
.LBB19_755:
	s_and_b64 vcc, exec, s[10:11]
	s_cbranch_vccz .LBB19_796
; %bb.756:
	s_cmp_gt_i32 s15, 22
	s_mov_b64 s[10:11], -1
	s_cbranch_scc0 .LBB19_788
; %bb.757:
	s_cmp_lt_i32 s15, 24
	s_mov_b64 s[8:9], -1
	s_cbranch_scc1 .LBB19_777
; %bb.758:
	s_cmp_gt_i32 s15, 24
	s_cbranch_scc0 .LBB19_766
; %bb.759:
	v_and_b32_e32 v0, 0x7fffffff, v1
	s_mov_b32 s8, 0x47800000
	v_cmp_gt_u32_e32 vcc, s8, v0
	v_mov_b32_e32 v2, 0x80
	s_and_saveexec_b64 s[8:9], vcc
	s_cbranch_execz .LBB19_765
; %bb.760:
	s_mov_b32 s10, 0x37ffffff
	v_cmp_lt_u32_e32 vcc, s10, v0
	s_mov_b64 s[10:11], 0
                                        ; implicit-def: $vgpr0
	s_and_saveexec_b64 s[12:13], vcc
	s_xor_b64 s[12:13], exec, s[12:13]
	s_cbranch_execz .LBB19_872
; %bb.761:
	v_bfe_u32 v0, v1, 21, 1
	s_mov_b32 s16, 0x88fffff
	v_add3_u32 v0, v1, v0, s16
	s_mov_b64 s[10:11], exec
	v_lshrrev_b32_e32 v0, 21, v0
	s_andn2_saveexec_b64 s[12:13], s[12:13]
	s_cbranch_execnz .LBB19_873
.LBB19_762:
	s_or_b64 exec, exec, s[12:13]
	v_mov_b32_e32 v2, 0
	s_and_saveexec_b64 s[12:13], s[10:11]
.LBB19_763:
	v_lshrrev_b32_e32 v2, 24, v1
	s_movk_i32 s10, 0x80
	v_and_or_b32 v2, v2, s10, v0
.LBB19_764:
	s_or_b64 exec, exec, s[12:13]
.LBB19_765:
	s_or_b64 exec, exec, s[8:9]
	s_mov_b64 s[8:9], 0
	global_store_byte v[3:4], v2, off
.LBB19_766:
	s_and_b64 vcc, exec, s[8:9]
	s_cbranch_vccz .LBB19_776
; %bb.767:
	v_and_b32_e32 v2, 0x7fffffff, v1
	s_mov_b32 s8, 0x43f00000
	v_cmp_gt_u32_e32 vcc, s8, v2
                                        ; implicit-def: $vgpr0
	s_and_saveexec_b64 s[8:9], vcc
	s_xor_b64 s[8:9], exec, s[8:9]
	s_cbranch_execz .LBB19_773
; %bb.768:
	s_mov_b32 s10, 0x3c7fffff
	v_cmp_lt_u32_e32 vcc, s10, v2
                                        ; implicit-def: $vgpr0
	s_and_saveexec_b64 s[10:11], vcc
	s_xor_b64 s[10:11], exec, s[10:11]
; %bb.769:
	v_bfe_u32 v0, v1, 20, 1
	s_mov_b32 s12, 0x407ffff
	v_add3_u32 v0, v1, v0, s12
	v_lshrrev_b32_e32 v2, 20, v0
	v_and_b32_e32 v0, 0xff00000, v0
	s_mov_b32 s12, 0x7f00000
	v_mov_b32_e32 v5, 0x7e
	v_cmp_ne_u32_e32 vcc, s12, v0
	v_cndmask_b32_e32 v0, v5, v2, vcc
; %bb.770:
	s_andn2_saveexec_b64 s[10:11], s[10:11]
; %bb.771:
	s_mov_b32 s12, 0x46800000
	v_add_f32_e64 v0, |v1|, s12
; %bb.772:
	s_or_b64 exec, exec, s[10:11]
                                        ; implicit-def: $vgpr2
.LBB19_773:
	s_andn2_saveexec_b64 s[8:9], s[8:9]
; %bb.774:
	s_mov_b32 s10, 0x7f800000
	v_mov_b32_e32 v0, 0x7e
	v_mov_b32_e32 v5, 0x7f
	v_cmp_lt_u32_e32 vcc, s10, v2
	v_cndmask_b32_e32 v0, v0, v5, vcc
; %bb.775:
	s_or_b64 exec, exec, s[8:9]
	v_lshrrev_b32_e32 v2, 24, v1
	s_movk_i32 s8, 0x80
	v_and_or_b32 v0, v2, s8, v0
	global_store_byte v[3:4], v0, off
.LBB19_776:
	s_mov_b64 s[8:9], 0
.LBB19_777:
	s_andn2_b64 vcc, exec, s[8:9]
	s_cbranch_vccnz .LBB19_787
; %bb.778:
	v_and_b32_e32 v2, 0x7fffffff, v1
	s_mov_b32 s8, 0x47800000
	v_cmp_gt_u32_e32 vcc, s8, v2
                                        ; implicit-def: $vgpr0
	s_and_saveexec_b64 s[8:9], vcc
	s_xor_b64 s[8:9], exec, s[8:9]
	s_cbranch_execz .LBB19_784
; %bb.779:
	s_mov_b32 s10, 0x387fffff
	v_cmp_lt_u32_e32 vcc, s10, v2
                                        ; implicit-def: $vgpr0
	s_and_saveexec_b64 s[10:11], vcc
	s_xor_b64 s[10:11], exec, s[10:11]
; %bb.780:
	v_bfe_u32 v0, v1, 21, 1
	s_mov_b32 s12, 0x80fffff
	v_add3_u32 v0, v1, v0, s12
	v_lshrrev_b32_e32 v0, 21, v0
; %bb.781:
	s_andn2_saveexec_b64 s[10:11], s[10:11]
; %bb.782:
	s_mov_b32 s12, 0x43000000
	v_add_f32_e64 v0, |v1|, s12
; %bb.783:
	s_or_b64 exec, exec, s[10:11]
                                        ; implicit-def: $vgpr2
.LBB19_784:
	s_andn2_saveexec_b64 s[8:9], s[8:9]
; %bb.785:
	s_mov_b32 s10, 0x7f800000
	v_mov_b32_e32 v0, 0x7c
	v_mov_b32_e32 v5, 0x7f
	v_cmp_lt_u32_e32 vcc, s10, v2
	v_cndmask_b32_e32 v0, v0, v5, vcc
; %bb.786:
	s_or_b64 exec, exec, s[8:9]
	v_lshrrev_b32_e32 v2, 24, v1
	s_movk_i32 s8, 0x80
	v_and_or_b32 v0, v2, s8, v0
	global_store_byte v[3:4], v0, off
.LBB19_787:
	s_mov_b64 s[10:11], 0
	s_mov_b64 s[8:9], -1
.LBB19_788:
	s_andn2_b64 vcc, exec, s[10:11]
	s_cbranch_vccnz .LBB19_796
; %bb.789:
	s_cmp_gt_i32 s15, 14
	s_mov_b64 s[10:11], -1
	s_cbranch_scc0 .LBB19_793
; %bb.790:
	s_cmp_eq_u32 s15, 15
	s_mov_b64 s[0:1], -1
	s_cbranch_scc0 .LBB19_792
; %bb.791:
	v_bfe_u32 v0, v1, 16, 1
	s_movk_i32 s0, 0x7fff
	v_add3_u32 v0, v1, v0, s0
	v_cmp_o_f32_e32 vcc, v1, v1
	v_mov_b32_e32 v2, 0x7fc0
	v_cndmask_b32_sdwa v0, v2, v0, vcc dst_sel:DWORD dst_unused:UNUSED_PAD src0_sel:DWORD src1_sel:WORD_1
	global_store_short v[3:4], v0, off
	s_mov_b64 s[8:9], -1
	s_mov_b64 s[0:1], 0
.LBB19_792:
	s_mov_b64 s[10:11], 0
.LBB19_793:
	s_and_b64 vcc, exec, s[10:11]
	s_cbranch_vccz .LBB19_796
; %bb.794:
	s_cmp_eq_u32 s15, 11
	s_mov_b64 s[0:1], -1
	s_cbranch_scc0 .LBB19_796
; %bb.795:
	v_cmp_neq_f32_e32 vcc, 0, v1
	v_cndmask_b32_e64 v0, 0, 1, vcc
	s_mov_b64 s[8:9], -1
	s_mov_b64 s[0:1], 0
	global_store_byte v[3:4], v0, off
.LBB19_796:
	s_mov_b64 s[10:11], 0
.LBB19_797:
	s_and_b64 vcc, exec, s[10:11]
	s_cbranch_vccz .LBB19_836
; %bb.798:
	s_and_b32 s10, 0xffff, s14
	s_cmp_lt_i32 s10, 5
	s_mov_b64 s[8:9], -1
	s_cbranch_scc1 .LBB19_819
; %bb.799:
	s_cmp_lt_i32 s10, 8
	s_cbranch_scc1 .LBB19_809
; %bb.800:
	s_cmp_lt_i32 s10, 9
	s_cbranch_scc1 .LBB19_806
; %bb.801:
	s_cmp_gt_i32 s10, 9
	s_cbranch_scc0 .LBB19_803
; %bb.802:
	v_cvt_f64_f32_e32 v[9:10], v1
	v_mov_b32_e32 v11, 0
	v_mov_b32_e32 v12, v11
	s_mov_b64 s[8:9], 0
	global_store_dwordx4 v[3:4], v[9:12], off
.LBB19_803:
	s_andn2_b64 vcc, exec, s[8:9]
	s_cbranch_vccnz .LBB19_805
; %bb.804:
	v_mov_b32_e32 v2, 0
	global_store_dwordx2 v[3:4], v[1:2], off
.LBB19_805:
	s_mov_b64 s[8:9], 0
.LBB19_806:
	s_andn2_b64 vcc, exec, s[8:9]
	s_cbranch_vccnz .LBB19_808
; %bb.807:
	v_cvt_f16_f32_e32 v0, v1
	global_store_dword v[3:4], v0, off
.LBB19_808:
	s_mov_b64 s[8:9], 0
.LBB19_809:
	s_andn2_b64 vcc, exec, s[8:9]
	s_cbranch_vccnz .LBB19_818
; %bb.810:
	s_cmp_lt_i32 s10, 6
	s_mov_b64 s[8:9], -1
	s_cbranch_scc1 .LBB19_816
; %bb.811:
	s_cmp_gt_i32 s10, 6
	s_cbranch_scc0 .LBB19_813
; %bb.812:
	v_cvt_f64_f32_e32 v[5:6], v1
	s_mov_b64 s[8:9], 0
	global_store_dwordx2 v[3:4], v[5:6], off
.LBB19_813:
	s_andn2_b64 vcc, exec, s[8:9]
	s_cbranch_vccnz .LBB19_815
; %bb.814:
	global_store_dword v[3:4], v1, off
.LBB19_815:
	s_mov_b64 s[8:9], 0
.LBB19_816:
	s_andn2_b64 vcc, exec, s[8:9]
	s_cbranch_vccnz .LBB19_818
; %bb.817:
	v_cvt_f16_f32_e32 v0, v1
	global_store_short v[3:4], v0, off
.LBB19_818:
	s_mov_b64 s[8:9], 0
.LBB19_819:
	s_andn2_b64 vcc, exec, s[8:9]
	s_cbranch_vccnz .LBB19_835
; %bb.820:
	s_cmp_lt_i32 s10, 2
	s_mov_b64 s[8:9], -1
	s_cbranch_scc1 .LBB19_830
; %bb.821:
	s_cmp_lt_i32 s10, 3
	s_cbranch_scc1 .LBB19_827
; %bb.822:
	s_cmp_gt_i32 s10, 3
	s_cbranch_scc0 .LBB19_824
; %bb.823:
	v_trunc_f32_e32 v0, v1
	s_mov_b32 s8, 0x2f800000
	v_mul_f32_e64 v2, |v0|, s8
	v_floor_f32_e32 v2, v2
	s_mov_b32 s8, 0xcf800000
	v_cvt_u32_f32_e32 v5, v2
	v_fma_f32 v2, v2, s8, |v0|
	v_cvt_u32_f32_e32 v2, v2
	v_ashrrev_i32_e32 v0, 31, v0
	v_xor_b32_e32 v6, v5, v0
	s_mov_b64 s[8:9], 0
	v_xor_b32_e32 v2, v2, v0
	v_sub_co_u32_e32 v5, vcc, v2, v0
	v_subb_co_u32_e32 v6, vcc, v6, v0, vcc
	global_store_dwordx2 v[3:4], v[5:6], off
.LBB19_824:
	s_andn2_b64 vcc, exec, s[8:9]
	s_cbranch_vccnz .LBB19_826
; %bb.825:
	v_cvt_i32_f32_e32 v0, v1
	global_store_dword v[3:4], v0, off
.LBB19_826:
	s_mov_b64 s[8:9], 0
.LBB19_827:
	s_andn2_b64 vcc, exec, s[8:9]
	s_cbranch_vccnz .LBB19_829
; %bb.828:
	v_cvt_i32_f32_e32 v0, v1
	global_store_short v[3:4], v0, off
.LBB19_829:
	s_mov_b64 s[8:9], 0
.LBB19_830:
	s_andn2_b64 vcc, exec, s[8:9]
	s_cbranch_vccnz .LBB19_835
; %bb.831:
	s_cmp_gt_i32 s10, 0
	s_mov_b64 s[8:9], -1
	s_cbranch_scc0 .LBB19_833
; %bb.832:
	v_cvt_i32_f32_e32 v0, v1
	s_mov_b64 s[8:9], 0
	global_store_byte v[3:4], v0, off
.LBB19_833:
	s_andn2_b64 vcc, exec, s[8:9]
	s_cbranch_vccnz .LBB19_835
; %bb.834:
	v_trunc_f32_e32 v0, v1
	s_mov_b32 s8, 0x2f800000
	v_mul_f32_e64 v1, |v0|, s8
	v_floor_f32_e32 v1, v1
	s_mov_b32 s8, 0xcf800000
	v_fma_f32 v1, v1, s8, |v0|
	v_cvt_u32_f32_e32 v1, v1
	v_ashrrev_i32_e32 v0, 31, v0
	v_xor_b32_e32 v1, v1, v0
	v_sub_u32_e32 v0, v1, v0
	global_store_byte v[3:4], v0, off
.LBB19_835:
	s_mov_b64 s[8:9], -1
.LBB19_836:
	s_andn2_b64 vcc, exec, s[8:9]
	s_cbranch_vccnz .LBB19_838
; %bb.837:
	v_add_u32_e32 v8, 0x80, v8
	s_mov_b64 s[8:9], -1
	s_branch .LBB19_840
.LBB19_838:
	s_mov_b64 s[8:9], 0
.LBB19_839:
                                        ; implicit-def: $vgpr8
.LBB19_840:
	s_andn2_b64 s[10:11], s[60:61], exec
	s_and_b64 s[0:1], s[0:1], exec
	s_or_b64 s[68:69], s[10:11], s[0:1]
	s_andn2_b64 s[0:1], s[58:59], exec
	s_and_b64 s[2:3], s[2:3], exec
	s_or_b64 s[66:67], s[0:1], s[2:3]
	s_orn2_b64 s[2:3], s[8:9], exec
.LBB19_841:
	s_or_b64 exec, exec, s[64:65]
	s_mov_b64 s[0:1], 0
	s_mov_b64 s[8:9], 0
	;; [unrolled: 1-line block ×3, first 2 shown]
                                        ; implicit-def: $vgpr1_vgpr2
                                        ; implicit-def: $vgpr0
                                        ; implicit-def: $vgpr5
	s_and_saveexec_b64 s[64:65], s[2:3]
	s_cbranch_execz .LBB19_940
; %bb.842:
	v_cmp_gt_i32_e32 vcc, s70, v8
	s_mov_b64 s[2:3], 0
	s_mov_b64 s[12:13], s[66:67]
                                        ; implicit-def: $vgpr1_vgpr2
                                        ; implicit-def: $vgpr0
                                        ; implicit-def: $vgpr5
	s_and_saveexec_b64 s[70:71], vcc
	s_cbranch_execz .LBB19_939
; %bb.843:
	s_andn2_b64 vcc, exec, s[40:41]
	s_cbranch_vccnz .LBB19_848
; %bb.844:
	s_andn2_b64 vcc, exec, s[50:51]
	s_cbranch_vccnz .LBB19_849
; %bb.845:
	s_add_i32 s76, s75, 1
	s_cmp_eq_u32 s72, 2
	s_cbranch_scc1 .LBB19_850
; %bb.846:
	s_and_b32 s75, s76, 28
	v_mov_b32_e32 v2, 0
	s_mov_b32 s77, 0
	s_mov_b64 s[50:51], s[34:35]
	v_mov_b32_e32 v0, 0
	v_mov_b32_e32 v1, v8
.LBB19_847:                             ; =>This Inner Loop Header: Depth=1
	s_load_dwordx8 s[16:23], s[50:51], 0x4
	s_load_dwordx4 s[0:3], s[50:51], 0x24
	s_load_dwordx8 s[8:15], s[48:49], 0x0
	s_add_u32 s50, s50, 48
	s_addc_u32 s51, s51, 0
	s_waitcnt vmcnt(0) lgkmcnt(0)
	v_mul_hi_u32 v3, s17, v1
	s_add_i32 s77, s77, 4
	s_add_u32 s48, s48, 32
	s_addc_u32 s49, s49, 0
	v_add_u32_e32 v3, v1, v3
	v_lshrrev_b32_e32 v3, s18, v3
	v_mul_lo_u32 v4, v3, s16
	v_mul_hi_u32 v5, s20, v3
	s_cmp_eq_u32 s75, s77
	v_sub_u32_e32 v1, v1, v4
	v_add_u32_e32 v4, v3, v5
	v_mul_lo_u32 v5, v1, s8
	v_mul_lo_u32 v6, v1, s9
	v_lshrrev_b32_e32 v1, s21, v4
	v_mul_lo_u32 v4, v1, s19
	v_mul_hi_u32 v7, s23, v1
	v_sub_u32_e32 v3, v3, v4
	v_add_u32_e32 v4, v1, v7
	v_lshrrev_b32_e32 v4, s0, v4
	v_mul_hi_u32 v9, s2, v4
	v_mul_lo_u32 v10, v4, s22
	v_mul_lo_u32 v7, v3, s10
	;; [unrolled: 1-line block ×3, first 2 shown]
	v_sub_u32_e32 v10, v1, v10
	v_add_u32_e32 v1, v4, v9
	v_lshrrev_b32_e32 v1, s3, v1
	v_mul_lo_u32 v9, v1, s1
	v_mul_lo_u32 v11, v10, s12
	;; [unrolled: 1-line block ×3, first 2 shown]
	v_add3_u32 v0, v5, v0, v7
	v_sub_u32_e32 v4, v4, v9
	v_mul_lo_u32 v9, v4, s14
	v_mul_lo_u32 v4, v4, s15
	v_add3_u32 v2, v6, v2, v3
	v_add3_u32 v0, v11, v0, v9
	v_add3_u32 v2, v10, v2, v4
	s_cbranch_scc0 .LBB19_847
	s_branch .LBB19_851
.LBB19_848:
	s_mov_b64 s[0:1], -1
                                        ; implicit-def: $vgpr0
                                        ; implicit-def: $vgpr2
	s_branch .LBB19_855
.LBB19_849:
	v_mov_b32_e32 v0, 0
	v_mov_b32_e32 v2, 0
	s_branch .LBB19_854
.LBB19_850:
	s_mov_b32 s75, 0
	v_mov_b32_e32 v0, 0
	v_mov_b32_e32 v2, 0
	;; [unrolled: 1-line block ×3, first 2 shown]
.LBB19_851:
	s_and_b32 s8, s76, 3
	s_cmp_eq_u32 s8, 0
	s_cbranch_scc1 .LBB19_854
; %bb.852:
	s_lshl_b32 s0, s75, 3
	s_add_u32 s0, s34, s0
	s_addc_u32 s1, s35, 0
	s_add_u32 s0, s0, 0xc4
	s_addc_u32 s1, s1, 0
	s_mul_i32 s2, s75, 12
	s_add_u32 s2, s34, s2
	s_addc_u32 s3, s35, 0
.LBB19_853:                             ; =>This Inner Loop Header: Depth=1
	s_load_dwordx2 s[10:11], s[2:3], 0x4
	s_load_dword s9, s[2:3], 0xc
	s_load_dwordx2 s[12:13], s[0:1], 0x0
	s_add_u32 s2, s2, 12
	s_addc_u32 s3, s3, 0
	s_waitcnt vmcnt(0) lgkmcnt(0)
	v_mul_hi_u32 v3, s11, v1
	s_add_u32 s0, s0, 8
	s_addc_u32 s1, s1, 0
	s_add_i32 s8, s8, -1
	v_add_u32_e32 v3, v1, v3
	v_lshrrev_b32_e32 v4, s9, v3
	v_mul_lo_u32 v3, v4, s10
	s_cmp_lg_u32 s8, 0
	v_sub_u32_e32 v3, v1, v3
	v_mad_u64_u32 v[0:1], s[10:11], v3, s12, v[0:1]
	v_mad_u64_u32 v[2:3], s[10:11], v3, s13, v[2:3]
	v_mov_b32_e32 v1, v4
	s_cbranch_scc1 .LBB19_853
.LBB19_854:
	s_mov_b64 s[0:1], 0
.LBB19_855:
	s_andn2_b64 vcc, exec, s[0:1]
	s_cbranch_vccnz .LBB19_858
; %bb.856:
	s_waitcnt lgkmcnt(0)
	v_mul_hi_u32 v0, s37, v8
	s_andn2_b64 vcc, exec, s[46:47]
	v_add_u32_e32 v0, v8, v0
	v_lshrrev_b32_e32 v1, s38, v0
	v_mul_lo_u32 v0, v1, s36
	v_sub_u32_e32 v2, v8, v0
	v_mul_lo_u32 v0, v2, s28
	v_mul_lo_u32 v2, v2, s29
	s_cbranch_vccnz .LBB19_858
; %bb.857:
	s_waitcnt vmcnt(0)
	v_mul_hi_u32 v3, s44, v1
	v_add_u32_e32 v3, v1, v3
	v_lshrrev_b32_e32 v3, s45, v3
	v_mul_lo_u32 v3, v3, s39
	v_sub_u32_e32 v3, v1, v3
	v_mad_u64_u32 v[0:1], s[0:1], v3, s30, v[0:1]
	v_mad_u64_u32 v[2:3], s[0:1], v3, s31, v[2:3]
.LBB19_858:
	s_waitcnt vmcnt(0) lgkmcnt(0)
	v_mov_b32_e32 v3, s27
	s_and_b32 s14, 0xffff, s74
	v_add_co_u32_e32 v1, vcc, s26, v2
	s_cmp_lt_i32 s14, 11
	v_addc_co_u32_e32 v2, vcc, 0, v3, vcc
	s_cbranch_scc1 .LBB19_865
; %bb.859:
	s_cmp_gt_i32 s14, 25
	s_mov_b64 s[2:3], 0
	s_cbranch_scc0 .LBB19_866
; %bb.860:
	s_cmp_gt_i32 s14, 28
	s_cbranch_scc0 .LBB19_867
; %bb.861:
	s_cmp_gt_i32 s14, 43
	;; [unrolled: 3-line block ×3, first 2 shown]
	s_cbranch_scc0 .LBB19_871
; %bb.863:
	s_cmp_eq_u32 s14, 46
	s_mov_b64 s[10:11], 0
	s_cbranch_scc0 .LBB19_874
; %bb.864:
	global_load_dword v3, v[1:2], off
	s_mov_b64 s[0:1], 0
	s_mov_b64 s[8:9], -1
	s_waitcnt vmcnt(0)
	v_lshlrev_b32_e32 v5, 16, v3
	s_branch .LBB19_875
.LBB19_865:
	s_mov_b64 s[12:13], -1
	s_mov_b64 s[8:9], 0
	s_mov_b64 s[2:3], 0
	;; [unrolled: 1-line block ×3, first 2 shown]
                                        ; implicit-def: $vgpr5
	s_branch .LBB19_938
.LBB19_866:
	s_mov_b64 s[10:11], -1
	s_mov_b64 s[8:9], 0
	s_mov_b64 s[0:1], s[66:67]
                                        ; implicit-def: $vgpr5
	s_branch .LBB19_904
.LBB19_867:
	s_mov_b64 s[10:11], -1
	s_mov_b64 s[8:9], 0
	s_mov_b64 s[0:1], s[66:67]
                                        ; implicit-def: $vgpr5
	s_branch .LBB19_885
.LBB19_868:
	s_mov_b64 s[10:11], -1
	s_mov_b64 s[8:9], 0
	s_mov_b64 s[0:1], s[66:67]
                                        ; implicit-def: $vgpr5
	s_branch .LBB19_880
.LBB19_869:
	s_andn2_saveexec_b64 s[12:13], s[12:13]
	s_cbranch_execz .LBB19_749
.LBB19_870:
	s_mov_b32 s16, 0x46000000
	v_add_f32_e64 v0, |v1|, s16
	v_and_b32_e32 v0, 0xff, v0
	v_cmp_ne_u32_e32 vcc, 0, v0
	s_andn2_b64 s[10:11], s[10:11], exec
	s_and_b64 s[16:17], vcc, exec
	s_or_b64 s[10:11], s[10:11], s[16:17]
	s_or_b64 exec, exec, s[12:13]
	v_mov_b32_e32 v2, 0
	s_and_saveexec_b64 s[12:13], s[10:11]
	s_cbranch_execnz .LBB19_750
	s_branch .LBB19_751
.LBB19_871:
	s_mov_b64 s[10:11], -1
	s_mov_b64 s[8:9], 0
	s_mov_b64 s[0:1], s[66:67]
                                        ; implicit-def: $vgpr5
	s_branch .LBB19_875
.LBB19_872:
	s_andn2_saveexec_b64 s[12:13], s[12:13]
	s_cbranch_execz .LBB19_762
.LBB19_873:
	s_mov_b32 s16, 0x42800000
	v_add_f32_e64 v0, |v1|, s16
	v_and_b32_e32 v0, 0xff, v0
	v_cmp_ne_u32_e32 vcc, 0, v0
	s_andn2_b64 s[10:11], s[10:11], exec
	s_and_b64 s[16:17], vcc, exec
	s_or_b64 s[10:11], s[10:11], s[16:17]
	s_or_b64 exec, exec, s[12:13]
	v_mov_b32_e32 v2, 0
	s_and_saveexec_b64 s[12:13], s[10:11]
	s_cbranch_execnz .LBB19_763
	s_branch .LBB19_764
.LBB19_874:
	s_mov_b64 s[0:1], -1
                                        ; implicit-def: $vgpr5
	s_mov_b64 s[8:9], 0
.LBB19_875:
	s_and_b64 vcc, exec, s[10:11]
	s_cbranch_vccz .LBB19_879
; %bb.876:
	s_cmp_eq_u32 s14, 44
	s_cbranch_scc0 .LBB19_878
; %bb.877:
	global_load_ubyte v3, v[1:2], off
	s_movk_i32 s8, 0xff
	v_mov_b32_e32 v4, 0x7f800001
	v_mov_b32_e32 v5, 0x400000
	s_mov_b64 s[0:1], 0
	s_waitcnt vmcnt(0)
	v_lshlrev_b32_e32 v6, 23, v3
	v_cmp_ne_u32_e32 vcc, s8, v3
	v_cndmask_b32_e32 v4, v4, v6, vcc
	v_cmp_ne_u32_e32 vcc, 0, v3
	v_cndmask_b32_e32 v5, v5, v4, vcc
	s_mov_b64 s[8:9], -1
	s_branch .LBB19_879
.LBB19_878:
	s_mov_b64 s[0:1], -1
                                        ; implicit-def: $vgpr5
.LBB19_879:
	s_mov_b64 s[10:11], 0
.LBB19_880:
	s_and_b64 vcc, exec, s[10:11]
	s_cbranch_vccz .LBB19_884
; %bb.881:
	s_cmp_eq_u32 s14, 29
	s_cbranch_scc0 .LBB19_883
; %bb.882:
	global_load_dwordx2 v[3:4], v[1:2], off
	s_mov_b64 s[0:1], 0
	s_mov_b64 s[8:9], -1
	s_mov_b64 s[10:11], 0
	s_waitcnt vmcnt(0)
	v_ffbh_u32_e32 v5, v4
	v_min_u32_e32 v5, 32, v5
	v_lshlrev_b64 v[3:4], v5, v[3:4]
	v_min_u32_e32 v3, 1, v3
	v_or_b32_e32 v3, v4, v3
	v_cvt_f32_u32_e32 v3, v3
	v_sub_u32_e32 v4, 32, v5
	v_ldexp_f32 v5, v3, v4
	s_branch .LBB19_885
.LBB19_883:
	s_mov_b64 s[0:1], -1
                                        ; implicit-def: $vgpr5
.LBB19_884:
	s_mov_b64 s[10:11], 0
.LBB19_885:
	s_and_b64 vcc, exec, s[10:11]
	s_cbranch_vccz .LBB19_903
; %bb.886:
	s_cmp_lt_i32 s14, 27
	s_cbranch_scc1 .LBB19_889
; %bb.887:
	s_cmp_gt_i32 s14, 27
	s_cbranch_scc0 .LBB19_890
; %bb.888:
	global_load_dword v3, v[1:2], off
	s_mov_b64 s[8:9], 0
	s_waitcnt vmcnt(0)
	v_cvt_f32_u32_e32 v5, v3
	s_branch .LBB19_891
.LBB19_889:
	s_mov_b64 s[8:9], -1
                                        ; implicit-def: $vgpr5
	s_branch .LBB19_894
.LBB19_890:
	s_mov_b64 s[8:9], -1
                                        ; implicit-def: $vgpr5
.LBB19_891:
	s_andn2_b64 vcc, exec, s[8:9]
	s_cbranch_vccnz .LBB19_893
; %bb.892:
	global_load_ushort v3, v[1:2], off
	s_waitcnt vmcnt(0)
	v_cvt_f32_u32_e32 v5, v3
.LBB19_893:
	s_mov_b64 s[8:9], 0
.LBB19_894:
	s_andn2_b64 vcc, exec, s[8:9]
	s_cbranch_vccnz .LBB19_902
; %bb.895:
	global_load_ubyte v3, v[1:2], off
	s_movk_i32 s8, 0x7f
	s_waitcnt vmcnt(0)
	v_cmp_lt_i16_e32 vcc, s8, v3
	s_mov_b64 s[8:9], 0
	s_and_saveexec_b64 s[10:11], vcc
	s_xor_b64 s[10:11], exec, s[10:11]
	s_cbranch_execz .LBB19_916
; %bb.896:
	s_movk_i32 s8, 0x80
	v_cmp_eq_u16_e32 vcc, s8, v3
	s_mov_b64 s[8:9], -1
	s_and_saveexec_b64 s[12:13], vcc
; %bb.897:
	s_xor_b64 s[8:9], exec, -1
; %bb.898:
	s_or_b64 exec, exec, s[12:13]
	s_and_b64 s[8:9], s[8:9], exec
	s_or_saveexec_b64 s[10:11], s[10:11]
	v_mov_b32_e32 v5, 0x7f800001
	s_xor_b64 exec, exec, s[10:11]
	s_cbranch_execnz .LBB19_917
.LBB19_899:
	s_or_b64 exec, exec, s[10:11]
	s_and_saveexec_b64 s[10:11], s[8:9]
	s_cbranch_execz .LBB19_901
.LBB19_900:
	v_lshlrev_b32_e32 v4, 24, v3
	v_and_b32_e32 v3, 0xffff, v3
	v_and_b32_e32 v5, 7, v3
	v_ffbh_u32_e32 v7, v5
	v_min_u32_e32 v7, 32, v7
	v_subrev_u32_e32 v8, 28, v7
	v_bfe_u32 v6, v3, 3, 4
	v_lshlrev_b32_e32 v3, v8, v3
	v_sub_u32_e32 v7, 29, v7
	v_and_b32_e32 v3, 7, v3
	v_cmp_eq_u32_e32 vcc, 0, v6
	v_cndmask_b32_e32 v6, v6, v7, vcc
	v_cndmask_b32_e32 v3, v5, v3, vcc
	v_mov_b32_e32 v5, 0x3b800000
	v_lshlrev_b32_e32 v3, 20, v3
	v_and_b32_e32 v4, 0x80000000, v4
	v_lshl_add_u32 v5, v6, 23, v5
	v_or3_b32 v5, v4, v5, v3
.LBB19_901:
	s_or_b64 exec, exec, s[10:11]
.LBB19_902:
	s_mov_b64 s[8:9], -1
.LBB19_903:
	s_mov_b64 s[10:11], 0
.LBB19_904:
	s_and_b64 vcc, exec, s[10:11]
	s_cbranch_vccz .LBB19_937
; %bb.905:
	s_cmp_gt_i32 s14, 22
	s_cbranch_scc0 .LBB19_915
; %bb.906:
	s_cmp_lt_i32 s14, 24
	s_cbranch_scc1 .LBB19_918
; %bb.907:
	s_cmp_gt_i32 s14, 24
	s_cbranch_scc0 .LBB19_919
; %bb.908:
	global_load_ubyte v3, v[1:2], off
	s_movk_i32 s2, 0x7f
	s_waitcnt vmcnt(0)
	v_cmp_lt_i16_e32 vcc, s2, v3
	s_mov_b64 s[2:3], 0
	s_and_saveexec_b64 s[8:9], vcc
	s_xor_b64 s[8:9], exec, s[8:9]
	s_cbranch_execz .LBB19_931
; %bb.909:
	s_movk_i32 s2, 0x80
	v_cmp_eq_u16_e32 vcc, s2, v3
	s_mov_b64 s[2:3], -1
	s_and_saveexec_b64 s[10:11], vcc
; %bb.910:
	s_xor_b64 s[2:3], exec, -1
; %bb.911:
	s_or_b64 exec, exec, s[10:11]
	s_and_b64 s[2:3], s[2:3], exec
	s_or_saveexec_b64 s[8:9], s[8:9]
	v_mov_b32_e32 v5, 0x7f800001
	s_xor_b64 exec, exec, s[8:9]
	s_cbranch_execnz .LBB19_932
.LBB19_912:
	s_or_b64 exec, exec, s[8:9]
	s_and_saveexec_b64 s[8:9], s[2:3]
	s_cbranch_execz .LBB19_914
.LBB19_913:
	v_lshlrev_b32_e32 v4, 24, v3
	v_and_b32_e32 v3, 0xffff, v3
	v_and_b32_e32 v5, 3, v3
	v_ffbh_u32_e32 v7, v5
	v_min_u32_e32 v7, 32, v7
	v_subrev_u32_e32 v8, 29, v7
	v_bfe_u32 v6, v3, 2, 5
	v_lshlrev_b32_e32 v3, v8, v3
	v_sub_u32_e32 v7, 30, v7
	v_and_b32_e32 v3, 3, v3
	v_cmp_eq_u32_e32 vcc, 0, v6
	v_cndmask_b32_e32 v6, v6, v7, vcc
	v_cndmask_b32_e32 v3, v5, v3, vcc
	v_mov_b32_e32 v5, 0x37800000
	v_lshlrev_b32_e32 v3, 21, v3
	v_and_b32_e32 v4, 0x80000000, v4
	v_lshl_add_u32 v5, v6, 23, v5
	v_or3_b32 v5, v4, v5, v3
.LBB19_914:
	s_or_b64 exec, exec, s[8:9]
	s_mov_b64 s[2:3], 0
	s_branch .LBB19_920
.LBB19_915:
	s_mov_b64 s[2:3], -1
                                        ; implicit-def: $vgpr5
	s_branch .LBB19_926
.LBB19_916:
	s_or_saveexec_b64 s[10:11], s[10:11]
	v_mov_b32_e32 v5, 0x7f800001
	s_xor_b64 exec, exec, s[10:11]
	s_cbranch_execz .LBB19_899
.LBB19_917:
	v_cmp_ne_u16_e32 vcc, 0, v3
	s_andn2_b64 s[8:9], s[8:9], exec
	s_and_b64 s[12:13], vcc, exec
	v_mov_b32_e32 v5, 0
	s_or_b64 s[8:9], s[8:9], s[12:13]
	s_or_b64 exec, exec, s[10:11]
	s_and_saveexec_b64 s[10:11], s[8:9]
	s_cbranch_execnz .LBB19_900
	s_branch .LBB19_901
.LBB19_918:
	s_mov_b64 s[2:3], -1
                                        ; implicit-def: $vgpr5
	s_branch .LBB19_923
.LBB19_919:
	s_mov_b64 s[2:3], -1
                                        ; implicit-def: $vgpr5
.LBB19_920:
	s_and_b64 vcc, exec, s[2:3]
	s_cbranch_vccz .LBB19_922
; %bb.921:
	global_load_ubyte v3, v[1:2], off
	s_mov_b32 s2, 0x7f800000
	s_waitcnt vmcnt(0)
	v_lshlrev_b32_e32 v3, 24, v3
	v_and_b32_e32 v4, 0x7f000000, v3
	v_ffbh_u32_e32 v5, v4
	v_min_u32_e32 v5, 32, v5
	v_sub_u32_e64 v5, v5, 4 clamp
	v_lshlrev_b32_e32 v7, v5, v4
	v_lshlrev_b32_e32 v5, 23, v5
	v_lshrrev_b32_e32 v7, 4, v7
	v_add_u32_e32 v6, 0x1000000, v4
	v_sub_u32_e32 v5, v7, v5
	v_ashrrev_i32_e32 v6, 8, v6
	v_add_u32_e32 v5, 0x3c000000, v5
	v_and_or_b32 v5, v6, s2, v5
	v_cmp_ne_u32_e32 vcc, 0, v4
	v_cndmask_b32_e32 v4, 0, v5, vcc
	s_brev_b32 s2, 1
	v_and_or_b32 v5, v3, s2, v4
.LBB19_922:
	s_mov_b64 s[2:3], 0
.LBB19_923:
	s_andn2_b64 vcc, exec, s[2:3]
	s_cbranch_vccnz .LBB19_925
; %bb.924:
	global_load_ubyte v3, v[1:2], off
	s_movk_i32 s2, 0x7f00
	s_brev_b32 s3, 16
	s_waitcnt vmcnt(0)
	v_lshlrev_b16_e32 v4, 8, v3
	v_lshlrev_b32_e32 v3, 25, v3
	v_lshrrev_b32_e32 v5, 4, v3
	v_and_or_b32 v6, v4, s2, 0.5
	v_or_b32_e32 v5, 0x70000000, v5
	v_add_f32_e32 v6, -0.5, v6
	v_mul_f32_e32 v5, 0x7800000, v5
	v_cmp_gt_u32_e32 vcc, s3, v3
	v_bfe_i32 v4, v4, 0, 16
	v_cndmask_b32_e32 v3, v5, v6, vcc
	s_brev_b32 s2, 1
	v_and_or_b32 v5, v4, s2, v3
.LBB19_925:
	s_mov_b64 s[2:3], 0
	s_mov_b64 s[8:9], -1
.LBB19_926:
	s_andn2_b64 vcc, exec, s[2:3]
	s_mov_b64 s[2:3], 0
	s_cbranch_vccnz .LBB19_937
; %bb.927:
	s_cmp_gt_i32 s14, 14
	s_cbranch_scc0 .LBB19_930
; %bb.928:
	s_cmp_eq_u32 s14, 15
	s_cbranch_scc0 .LBB19_933
; %bb.929:
	global_load_ushort v3, v[1:2], off
	s_mov_b64 s[0:1], 0
	s_mov_b64 s[8:9], -1
	s_waitcnt vmcnt(0)
	v_lshlrev_b32_e32 v5, 16, v3
	s_branch .LBB19_934
.LBB19_930:
	s_mov_b64 s[10:11], -1
                                        ; implicit-def: $vgpr5
	s_branch .LBB19_935
.LBB19_931:
	s_or_saveexec_b64 s[8:9], s[8:9]
	v_mov_b32_e32 v5, 0x7f800001
	s_xor_b64 exec, exec, s[8:9]
	s_cbranch_execz .LBB19_912
.LBB19_932:
	v_cmp_ne_u16_e32 vcc, 0, v3
	s_andn2_b64 s[2:3], s[2:3], exec
	s_and_b64 s[10:11], vcc, exec
	v_mov_b32_e32 v5, 0
	s_or_b64 s[2:3], s[2:3], s[10:11]
	s_or_b64 exec, exec, s[8:9]
	s_and_saveexec_b64 s[8:9], s[2:3]
	s_cbranch_execnz .LBB19_913
	s_branch .LBB19_914
.LBB19_933:
	s_mov_b64 s[0:1], -1
                                        ; implicit-def: $vgpr5
.LBB19_934:
	s_mov_b64 s[10:11], 0
.LBB19_935:
	s_and_b64 vcc, exec, s[10:11]
	s_cbranch_vccz .LBB19_937
; %bb.936:
	s_cmp_lg_u32 s14, 11
	s_cselect_b64 s[10:11], -1, 0
	s_andn2_b64 s[0:1], s[0:1], exec
	s_and_b64 s[10:11], s[10:11], exec
	s_mov_b64 s[2:3], -1
	s_or_b64 s[0:1], s[0:1], s[10:11]
.LBB19_937:
	s_mov_b64 s[12:13], 0
.LBB19_938:
	s_and_b64 s[10:11], s[8:9], exec
	s_and_b64 s[8:9], s[12:13], exec
	s_andn2_b64 s[12:13], s[66:67], exec
	s_and_b64 s[0:1], s[0:1], exec
	s_and_b64 s[2:3], s[2:3], exec
	s_or_b64 s[12:13], s[12:13], s[0:1]
.LBB19_939:
	s_or_b64 exec, exec, s[70:71]
	s_and_b64 s[0:1], s[2:3], exec
	s_andn2_b64 s[2:3], s[66:67], exec
	s_and_b64 s[12:13], s[12:13], exec
	s_and_b64 s[10:11], s[10:11], exec
	;; [unrolled: 1-line block ×3, first 2 shown]
	s_or_b64 s[66:67], s[2:3], s[12:13]
.LBB19_940:
	s_or_b64 exec, exec, s[64:65]
	s_andn2_b64 s[2:3], s[60:61], exec
	s_and_b64 s[12:13], s[68:69], exec
	s_or_b64 s[60:61], s[2:3], s[12:13]
	s_and_b64 s[2:3], s[0:1], exec
	s_andn2_b64 s[0:1], s[58:59], exec
	s_and_b64 s[12:13], s[66:67], exec
	s_and_b64 s[10:11], s[10:11], exec
	;; [unrolled: 1-line block ×3, first 2 shown]
	s_or_b64 s[58:59], s[0:1], s[12:13]
.LBB19_941:
	s_or_b64 exec, exec, s[62:63]
	s_andn2_b64 s[0:1], s[52:53], exec
	s_and_b64 s[12:13], s[60:61], exec
	s_or_b64 s[52:53], s[0:1], s[12:13]
	s_and_b64 s[0:1], s[10:11], exec
	s_and_b64 s[10:11], s[8:9], exec
	;; [unrolled: 1-line block ×3, first 2 shown]
	s_andn2_b64 s[2:3], s[54:55], exec
	s_and_b64 s[8:9], s[58:59], exec
	s_or_b64 s[54:55], s[2:3], s[8:9]
	s_or_b64 exec, exec, s[56:57]
	s_mov_b64 s[2:3], 0
	s_and_saveexec_b64 s[8:9], s[54:55]
	s_cbranch_execz .LBB19_282
.LBB19_942:
	s_mov_b64 s[2:3], exec
	s_andn2_b64 s[60:61], s[60:61], exec
	s_trap 2
	s_or_b64 exec, exec, s[8:9]
	s_and_saveexec_b64 s[8:9], s[60:61]
	s_xor_b64 s[8:9], exec, s[8:9]
	s_cbranch_execnz .LBB19_283
.LBB19_943:
	s_or_b64 exec, exec, s[8:9]
	s_and_saveexec_b64 s[8:9], s[10:11]
	s_cbranch_execz .LBB19_989
.LBB19_944:
	s_sext_i32_i16 s10, s74
	s_cmp_lt_i32 s10, 5
	s_cbranch_scc1 .LBB19_949
; %bb.945:
	s_cmp_lt_i32 s10, 8
	s_cbranch_scc1 .LBB19_950
; %bb.946:
	;; [unrolled: 3-line block ×3, first 2 shown]
	s_cmp_gt_i32 s10, 9
	s_cbranch_scc0 .LBB19_952
; %bb.948:
	global_load_dwordx2 v[3:4], v[1:2], off
	s_mov_b64 s[10:11], 0
	s_waitcnt vmcnt(0)
	v_cvt_f32_f64_e32 v5, v[3:4]
	s_branch .LBB19_953
.LBB19_949:
                                        ; implicit-def: $vgpr5
	s_branch .LBB19_970
.LBB19_950:
                                        ; implicit-def: $vgpr5
	s_branch .LBB19_959
.LBB19_951:
	s_mov_b64 s[10:11], -1
                                        ; implicit-def: $vgpr5
	s_branch .LBB19_956
.LBB19_952:
	s_mov_b64 s[10:11], -1
                                        ; implicit-def: $vgpr5
.LBB19_953:
	s_andn2_b64 vcc, exec, s[10:11]
	s_cbranch_vccnz .LBB19_955
; %bb.954:
	global_load_dword v5, v[1:2], off
.LBB19_955:
	s_mov_b64 s[10:11], 0
.LBB19_956:
	s_andn2_b64 vcc, exec, s[10:11]
	s_cbranch_vccnz .LBB19_958
; %bb.957:
	global_load_dword v3, v[1:2], off
	s_waitcnt vmcnt(0)
	v_cvt_f32_f16_e32 v5, v3
.LBB19_958:
	s_cbranch_execnz .LBB19_969
.LBB19_959:
	s_sext_i32_i16 s10, s74
	s_cmp_lt_i32 s10, 6
	s_cbranch_scc1 .LBB19_962
; %bb.960:
	s_cmp_gt_i32 s10, 6
	s_cbranch_scc0 .LBB19_963
; %bb.961:
	global_load_dwordx2 v[3:4], v[1:2], off
	s_mov_b64 s[10:11], 0
	s_waitcnt vmcnt(0)
	v_cvt_f32_f64_e32 v5, v[3:4]
	s_branch .LBB19_964
.LBB19_962:
	s_mov_b64 s[10:11], -1
                                        ; implicit-def: $vgpr5
	s_branch .LBB19_967
.LBB19_963:
	s_mov_b64 s[10:11], -1
                                        ; implicit-def: $vgpr5
.LBB19_964:
	s_andn2_b64 vcc, exec, s[10:11]
	s_cbranch_vccnz .LBB19_966
; %bb.965:
	global_load_dword v5, v[1:2], off
.LBB19_966:
	s_mov_b64 s[10:11], 0
.LBB19_967:
	s_andn2_b64 vcc, exec, s[10:11]
	s_cbranch_vccnz .LBB19_969
; %bb.968:
	global_load_ushort v3, v[1:2], off
	s_waitcnt vmcnt(0)
	v_cvt_f32_f16_e32 v5, v3
.LBB19_969:
	s_cbranch_execnz .LBB19_988
.LBB19_970:
	s_sext_i32_i16 s10, s74
	s_cmp_lt_i32 s10, 2
	s_cbranch_scc1 .LBB19_974
; %bb.971:
	s_cmp_lt_i32 s10, 3
	s_cbranch_scc1 .LBB19_975
; %bb.972:
	s_cmp_gt_i32 s10, 3
	s_cbranch_scc0 .LBB19_976
; %bb.973:
	global_load_dwordx2 v[3:4], v[1:2], off
	s_mov_b64 s[10:11], 0
	s_waitcnt vmcnt(0)
	v_xor_b32_e32 v6, v3, v4
	v_ffbh_i32_e32 v5, v4
	v_ashrrev_i32_e32 v6, 31, v6
	v_add_u32_e32 v5, -1, v5
	v_add_u32_e32 v6, 32, v6
	v_min_u32_e32 v5, v5, v6
	v_lshlrev_b64 v[3:4], v5, v[3:4]
	v_min_u32_e32 v3, 1, v3
	v_or_b32_e32 v3, v4, v3
	v_cvt_f32_i32_e32 v3, v3
	v_sub_u32_e32 v4, 32, v5
	v_ldexp_f32 v5, v3, v4
	s_branch .LBB19_977
.LBB19_974:
                                        ; implicit-def: $vgpr5
	s_branch .LBB19_983
.LBB19_975:
	s_mov_b64 s[10:11], -1
                                        ; implicit-def: $vgpr5
	s_branch .LBB19_980
.LBB19_976:
	s_mov_b64 s[10:11], -1
                                        ; implicit-def: $vgpr5
.LBB19_977:
	s_andn2_b64 vcc, exec, s[10:11]
	s_cbranch_vccnz .LBB19_979
; %bb.978:
	global_load_dword v3, v[1:2], off
	s_waitcnt vmcnt(0)
	v_cvt_f32_i32_e32 v5, v3
.LBB19_979:
	s_mov_b64 s[10:11], 0
.LBB19_980:
	s_andn2_b64 vcc, exec, s[10:11]
	s_cbranch_vccnz .LBB19_982
; %bb.981:
	global_load_sshort v3, v[1:2], off
	s_waitcnt vmcnt(0)
	v_cvt_f32_i32_e32 v5, v3
.LBB19_982:
	s_cbranch_execnz .LBB19_988
.LBB19_983:
	s_sext_i32_i16 s10, s74
	s_cmp_gt_i32 s10, 0
	s_cbranch_scc0 .LBB19_985
; %bb.984:
	global_load_sbyte v3, v[1:2], off
	s_mov_b64 s[10:11], 0
	s_waitcnt vmcnt(0)
	v_cvt_f32_i32_e32 v5, v3
	s_branch .LBB19_986
.LBB19_985:
	s_mov_b64 s[10:11], -1
                                        ; implicit-def: $vgpr5
.LBB19_986:
	s_andn2_b64 vcc, exec, s[10:11]
	s_cbranch_vccnz .LBB19_988
; %bb.987:
	global_load_ubyte v1, v[1:2], off
	s_waitcnt vmcnt(0)
	v_cvt_f32_ubyte0_e32 v5, v1
.LBB19_988:
	s_or_b64 s[0:1], s[0:1], exec
.LBB19_989:
	s_or_b64 exec, exec, s[8:9]
	s_mov_b64 s[12:13], 0
	s_mov_b64 s[10:11], 0
                                        ; implicit-def: $sgpr18
                                        ; implicit-def: $vgpr3_vgpr4
                                        ; implicit-def: $vgpr1
	s_and_saveexec_b64 s[8:9], s[0:1]
	s_cbranch_execz .LBB19_1015
; %bb.990:
	s_waitcnt vmcnt(0)
	v_cmp_neq_f32_e32 vcc, 0, v5
	v_mov_b32_e32 v1, 0x7f800000
	s_and_saveexec_b64 s[10:11], vcc
	s_cbranch_execz .LBB19_998
; %bb.991:
	v_cmp_ngt_f32_e32 vcc, 0, v5
	v_mov_b32_e32 v1, 0x7fc00000
	s_and_saveexec_b64 s[12:13], vcc
	s_cbranch_execz .LBB19_997
; %bb.992:
	v_cmp_ge_f32_e32 vcc, 2.0, v5
                                        ; implicit-def: $vgpr1
	s_and_saveexec_b64 s[0:1], vcc
	s_xor_b64 s[14:15], exec, s[0:1]
	s_cbranch_execz .LBB19_994
; %bb.993:
	v_fma_f32 v1, v5, v5, -2.0
	v_mov_b32_e32 v2, 0x293fd856
	v_fmac_f32_e32 v2, 0x251e770f, v1
	v_mov_b32_e32 v3, 0xa51e770f
	v_fmac_f32_e32 v3, v1, v2
	v_add_f32_e32 v3, 0x2d3612e2, v3
	v_fma_f32 v2, v1, v3, -v2
	v_add_f32_e32 v2, 0x3102e09b, v2
	v_fma_f32 v3, v1, v2, -v3
	;; [unrolled: 2-line block ×7, first 2 shown]
	v_mul_f32_e32 v3, 0.5, v5
	s_mov_b32 s0, 0x800000
	v_cmp_gt_f32_e32 vcc, s0, v3
	v_cndmask_b32_e64 v4, 0, 32, vcc
	v_ldexp_f32 v3, v3, v4
	v_log_f32_e32 v3, v3
	v_add_f32_e32 v1, 0xbf090b37, v1
	v_sub_f32_e32 v1, v1, v2
	s_mov_b32 s0, 0x3f317217
	v_mul_f32_e32 v2, 0x3f317217, v3
	v_fma_f32 v2, v3, s0, -v2
	v_fmac_f32_e32 v2, 0x3377d1cf, v3
	s_mov_b32 s0, 0x7f800000
	v_fmac_f32_e32 v2, 0x3f317217, v3
	v_cmp_lt_f32_e64 s[0:1], |v3|, s0
	v_cndmask_b32_e64 v2, v3, v2, s[0:1]
	v_mul_f32_e32 v3, 0x3fb8aa3b, v5
	s_mov_b32 s0, 0x3fb8aa3b
	v_rndne_f32_e32 v4, v3
	v_sub_f32_e32 v6, v3, v4
	v_fma_f32 v3, v5, s0, -v3
	v_fmac_f32_e32 v3, 0x32a5705f, v5
	v_add_f32_e32 v3, v6, v3
	v_exp_f32_e32 v3, v3
	v_cvt_i32_f32_e32 v4, v4
	v_mov_b32_e32 v6, 0x41b17218
	s_mov_b32 s0, 0xc2ce8ed0
	v_cndmask_b32_e32 v6, 0, v6, vcc
	v_ldexp_f32 v3, v3, v4
	v_cmp_ngt_f32_e32 vcc, s0, v5
	s_mov_b32 s0, 0x42b17218
	v_cndmask_b32_e32 v3, 0, v3, vcc
	v_mov_b32_e32 v4, 0x7f800000
	v_cmp_nlt_f32_e32 vcc, s0, v5
	v_cndmask_b32_e32 v3, v4, v3, vcc
	v_fma_f32 v4, v5, 0.5, -2.0
	v_mov_b32_e32 v5, 0x24199b15
	v_sub_f32_e32 v2, v2, v6
	v_fmac_f32_e32 v5, 0xa2a2e5b9, v4
	v_mov_b32_e32 v6, 0x22a2e5b9
	v_fmac_f32_e32 v6, v4, v5
	v_add_f32_e32 v6, 0xa58c275c, v6
	v_fma_f32 v5, v4, v6, -v5
	v_add_f32_e32 v5, 0x26f736c5, v5
	v_fma_f32 v6, v4, v5, -v6
	;; [unrolled: 2-line block ×27, first 2 shown]
	v_add_f32_e32 v4, 0x3f2d4275, v4
	v_sub_f32_e32 v4, v4, v5
	v_mul_f32_e32 v4, 0.5, v4
	v_mul_f32_e32 v4, v3, v4
	v_mul_f32_e32 v2, v2, v4
	v_fma_f32 v1, v1, 0.5, -v2
	v_mul_f32_e32 v1, v3, v1
                                        ; implicit-def: $vgpr5
.LBB19_994:
	s_andn2_saveexec_b64 s[14:15], s[14:15]
	s_cbranch_execz .LBB19_996
; %bb.995:
	s_mov_b32 s16, 0x41000000
	v_div_scale_f32 v1, s[0:1], v5, v5, s16
	v_div_scale_f32 v2, vcc, s16, v5, s16
	s_mov_b32 s0, 0xf800000
	v_mul_f32_e32 v3, 0x4f800000, v5
	v_cmp_gt_f32_e64 s[0:1], s0, v5
	v_cndmask_b32_e64 v3, v5, v3, s[0:1]
	v_sqrt_f32_e32 v6, v3
	v_add_u32_e32 v9, 1, v6
	v_fma_f32 v11, -v9, v6, v3
	v_rcp_f32_e32 v4, v1
	v_fma_f32 v7, -v1, v4, 1.0
	v_fmac_f32_e32 v4, v7, v4
	v_mul_f32_e32 v7, v2, v4
	v_fma_f32 v8, -v1, v7, v2
	v_fmac_f32_e32 v7, v8, v4
	v_fma_f32 v1, -v1, v7, v2
	v_div_fmas_f32 v1, v1, v4, v7
	v_mov_b32_e32 v2, 0xa397f665
	v_mov_b32_e32 v4, 0xa2c38d2e
	v_add_u32_e32 v8, -1, v6
	v_fma_f32 v10, -v8, v6, v3
	v_cmp_ge_f32_e32 vcc, 0, v10
	v_cndmask_b32_e32 v6, v6, v8, vcc
	v_cmp_lt_f32_e32 vcc, 0, v11
	v_cndmask_b32_e32 v6, v6, v9, vcc
	v_mov_b32_e32 v7, 0x260
	v_mul_f32_e32 v8, 0x37800000, v6
	v_cndmask_b32_e64 v6, v6, v8, s[0:1]
	v_cmp_class_f32_e32 vcc, v3, v7
	v_cndmask_b32_e32 v3, v6, v3, vcc
	v_div_fixup_f32 v1, v1, v5, s16
	v_add_f32_e32 v1, -2.0, v1
	v_fmac_f32_e32 v2, 0x22c38d2e, v1
	v_fmac_f32_e32 v4, v1, v2
	v_add_f32_e32 v4, 0x24704972, v4
	v_fma_f32 v2, v1, v4, -v2
	v_add_f32_e32 v2, 0xa5417ca4, v2
	v_fma_f32 v4, v1, v2, -v4
	;; [unrolled: 2-line block ×22, first 2 shown]
	v_add_f32_e32 v1, 0x401c2ded, v1
	v_sub_f32_e32 v1, v1, v4
	v_mul_f32_e32 v1, 0.5, v1
	v_div_scale_f32 v2, s[0:1], v3, v3, v1
	v_div_scale_f32 v4, vcc, v1, v3, v1
	v_rcp_f32_e32 v5, v2
	v_fma_f32 v6, -v2, v5, 1.0
	v_fmac_f32_e32 v5, v6, v5
	v_mul_f32_e32 v6, v4, v5
	v_fma_f32 v7, -v2, v6, v4
	v_fmac_f32_e32 v6, v7, v5
	v_fma_f32 v2, -v2, v6, v4
	v_div_fmas_f32 v2, v2, v5, v6
	v_div_fixup_f32 v1, v2, v3, v1
.LBB19_996:
	s_or_b64 exec, exec, s[14:15]
.LBB19_997:
	s_or_b64 exec, exec, s[12:13]
.LBB19_998:
	s_or_b64 exec, exec, s[10:11]
	s_waitcnt lgkmcnt(0)
	v_mov_b32_e32 v2, s25
	s_and_b32 s18, s73, 0xff
	v_add_co_u32_e32 v3, vcc, s24, v0
	s_cmp_lt_i32 s18, 11
	v_addc_co_u32_e32 v4, vcc, 0, v2, vcc
	s_cbranch_scc1 .LBB19_1018
; %bb.999:
	s_and_b32 s19, 0xffff, s18
	s_mov_b64 s[12:13], -1
	s_cmp_gt_i32 s19, 25
	s_mov_b64 s[0:1], s[52:53]
	s_cbranch_scc0 .LBB19_1036
; %bb.1000:
	s_mov_b64 s[10:11], -1
	s_cmp_gt_i32 s19, 28
	s_mov_b64 s[0:1], s[52:53]
	s_cbranch_scc0 .LBB19_1020
; %bb.1001:
	s_cmp_gt_i32 s19, 43
	s_mov_b64 s[0:1], s[52:53]
	s_cbranch_scc0 .LBB19_1012
; %bb.1002:
	;; [unrolled: 4-line block ×3, first 2 shown]
	s_cmp_eq_u32 s19, 46
	s_mov_b64 s[0:1], -1
	s_cbranch_scc0 .LBB19_1005
; %bb.1004:
	v_bfe_u32 v0, v1, 16, 1
	s_movk_i32 s0, 0x7fff
	v_add3_u32 v0, v1, v0, s0
	v_cmp_o_f32_e32 vcc, v1, v1
	v_mov_b32_e32 v2, 0x7fc0
	v_cndmask_b32_sdwa v0, v2, v0, vcc dst_sel:DWORD dst_unused:UNUSED_PAD src0_sel:DWORD src1_sel:WORD_1
	global_store_dword v[3:4], v0, off
	s_mov_b64 s[0:1], 0
.LBB19_1005:
	s_mov_b64 s[10:11], 0
.LBB19_1006:
	s_and_b64 vcc, exec, s[10:11]
	s_cbranch_vccz .LBB19_1011
; %bb.1007:
	s_cmp_eq_u32 s19, 44
	s_mov_b64 s[0:1], -1
	s_cbranch_scc0 .LBB19_1011
; %bb.1008:
	v_bfe_u32 v0, v1, 23, 8
	s_movk_i32 s0, 0xff
	v_cmp_ne_u32_e32 vcc, s0, v0
	v_mov_b32_e32 v2, 0xff
	s_and_saveexec_b64 s[10:11], vcc
; %bb.1009:
	s_mov_b32 s0, 0x3fffff
	v_and_b32_e32 v5, 0x400000, v1
	v_and_or_b32 v0, v1, s0, v0
	v_cmp_ne_u32_e32 vcc, 0, v5
	v_cmp_ne_u32_e64 s[0:1], 0, v0
	s_and_b64 s[0:1], vcc, s[0:1]
	v_lshrrev_b32_e32 v2, 23, v1
	v_cndmask_b32_e64 v0, 0, 1, s[0:1]
	v_add_u32_e32 v2, v2, v0
; %bb.1010:
	s_or_b64 exec, exec, s[10:11]
	s_mov_b64 s[0:1], 0
	global_store_byte v[3:4], v2, off
.LBB19_1011:
	s_mov_b64 s[10:11], 0
.LBB19_1012:
	s_and_b64 vcc, exec, s[10:11]
	s_cbranch_vccz .LBB19_1019
; %bb.1013:
	s_cmp_eq_u32 s19, 29
	s_mov_b64 s[0:1], -1
	s_cbranch_scc0 .LBB19_1019
; %bb.1014:
	v_trunc_f32_e32 v0, v1
	v_mul_f32_e32 v2, 0x2f800000, v0
	v_floor_f32_e32 v2, v2
	v_fmac_f32_e32 v0, 0xcf800000, v2
	v_cvt_u32_f32_e32 v6, v2
	v_cvt_u32_f32_e32 v5, v0
	s_mov_b64 s[0:1], 0
	s_mov_b64 s[10:11], 0
	global_store_dwordx2 v[3:4], v[5:6], off
	s_branch .LBB19_1020
.LBB19_1015:
	s_or_b64 exec, exec, s[8:9]
	s_and_saveexec_b64 s[0:1], s[52:53]
	s_cbranch_execnz .LBB19_1078
.LBB19_1016:
	s_or_b64 exec, exec, s[0:1]
	s_and_saveexec_b64 s[0:1], s[12:13]
	s_xor_b64 s[0:1], exec, s[0:1]
	s_cbranch_execz .LBB19_1079
.LBB19_1017:
	v_cmp_neq_f32_e32 vcc, 0, v1
	v_cndmask_b32_e64 v0, 0, 1, vcc
	s_waitcnt vmcnt(0)
	global_store_byte v[3:4], v0, off
	s_or_b64 exec, exec, s[0:1]
	s_and_saveexec_b64 s[0:1], s[10:11]
	s_xor_b64 s[0:1], exec, s[0:1]
	s_cbranch_execz .LBB19_1117
	s_branch .LBB19_1080
.LBB19_1018:
	s_mov_b64 s[12:13], 0
	s_mov_b64 s[10:11], -1
	s_mov_b64 s[0:1], s[52:53]
	s_branch .LBB19_1077
.LBB19_1019:
	s_mov_b64 s[10:11], 0
.LBB19_1020:
	s_and_b64 vcc, exec, s[10:11]
	s_cbranch_vccz .LBB19_1035
; %bb.1021:
	s_cmp_lt_i32 s19, 27
	s_mov_b64 s[10:11], -1
	s_cbranch_scc1 .LBB19_1027
; %bb.1022:
	s_cmp_gt_i32 s19, 27
	s_cbranch_scc0 .LBB19_1024
; %bb.1023:
	v_cvt_u32_f32_e32 v0, v1
	s_mov_b64 s[10:11], 0
	global_store_dword v[3:4], v0, off
.LBB19_1024:
	s_andn2_b64 vcc, exec, s[10:11]
	s_cbranch_vccnz .LBB19_1026
; %bb.1025:
	v_cvt_u32_f32_e32 v0, v1
	global_store_short v[3:4], v0, off
.LBB19_1026:
	s_mov_b64 s[10:11], 0
.LBB19_1027:
	s_andn2_b64 vcc, exec, s[10:11]
	s_cbranch_vccnz .LBB19_1035
; %bb.1028:
	v_and_b32_e32 v0, 0x7fffffff, v1
	s_mov_b32 s10, 0x43800000
	v_cmp_gt_u32_e32 vcc, s10, v0
	v_mov_b32_e32 v2, 0x80
	s_and_saveexec_b64 s[10:11], vcc
	s_cbranch_execz .LBB19_1034
; %bb.1029:
	s_mov_b32 s12, 0x3bffffff
	v_cmp_lt_u32_e32 vcc, s12, v0
	s_mov_b64 s[12:13], 0
                                        ; implicit-def: $vgpr0
	s_and_saveexec_b64 s[14:15], vcc
	s_xor_b64 s[14:15], exec, s[14:15]
	s_cbranch_execz .LBB19_1188
; %bb.1030:
	v_bfe_u32 v0, v1, 20, 1
	s_mov_b32 s16, 0x487ffff
	v_add3_u32 v0, v1, v0, s16
	s_mov_b64 s[12:13], exec
	v_lshrrev_b32_e32 v0, 20, v0
	s_andn2_saveexec_b64 s[14:15], s[14:15]
	s_cbranch_execnz .LBB19_1189
.LBB19_1031:
	s_or_b64 exec, exec, s[14:15]
	v_mov_b32_e32 v2, 0
	s_and_saveexec_b64 s[14:15], s[12:13]
.LBB19_1032:
	v_lshrrev_b32_e32 v2, 24, v1
	s_movk_i32 s12, 0x80
	v_and_or_b32 v2, v2, s12, v0
.LBB19_1033:
	s_or_b64 exec, exec, s[14:15]
.LBB19_1034:
	s_or_b64 exec, exec, s[10:11]
	global_store_byte v[3:4], v2, off
.LBB19_1035:
	s_mov_b64 s[12:13], 0
.LBB19_1036:
	s_mov_b64 s[10:11], 0
	s_and_b64 vcc, exec, s[12:13]
	s_cbranch_vccz .LBB19_1076
; %bb.1037:
	s_cmp_gt_i32 s19, 22
	s_mov_b64 s[12:13], -1
	s_cbranch_scc0 .LBB19_1069
; %bb.1038:
	s_cmp_lt_i32 s19, 24
	s_cbranch_scc1 .LBB19_1058
; %bb.1039:
	s_cmp_gt_i32 s19, 24
	s_cbranch_scc0 .LBB19_1047
; %bb.1040:
	v_and_b32_e32 v0, 0x7fffffff, v1
	s_mov_b32 s12, 0x47800000
	v_cmp_gt_u32_e32 vcc, s12, v0
	v_mov_b32_e32 v2, 0x80
	s_and_saveexec_b64 s[12:13], vcc
	s_cbranch_execz .LBB19_1046
; %bb.1041:
	s_mov_b32 s14, 0x37ffffff
	v_cmp_lt_u32_e32 vcc, s14, v0
	s_mov_b64 s[14:15], 0
                                        ; implicit-def: $vgpr0
	s_and_saveexec_b64 s[16:17], vcc
	s_xor_b64 s[16:17], exec, s[16:17]
	s_cbranch_execz .LBB19_1321
; %bb.1042:
	v_bfe_u32 v0, v1, 21, 1
	s_mov_b32 s20, 0x88fffff
	v_add3_u32 v0, v1, v0, s20
	s_mov_b64 s[14:15], exec
	v_lshrrev_b32_e32 v0, 21, v0
	s_andn2_saveexec_b64 s[16:17], s[16:17]
	s_cbranch_execnz .LBB19_1322
.LBB19_1043:
	s_or_b64 exec, exec, s[16:17]
	v_mov_b32_e32 v2, 0
	s_and_saveexec_b64 s[16:17], s[14:15]
.LBB19_1044:
	v_lshrrev_b32_e32 v2, 24, v1
	s_movk_i32 s14, 0x80
	v_and_or_b32 v2, v2, s14, v0
.LBB19_1045:
	s_or_b64 exec, exec, s[16:17]
.LBB19_1046:
	s_or_b64 exec, exec, s[12:13]
	s_mov_b64 s[12:13], 0
	global_store_byte v[3:4], v2, off
.LBB19_1047:
	s_and_b64 vcc, exec, s[12:13]
	s_cbranch_vccz .LBB19_1057
; %bb.1048:
	v_and_b32_e32 v2, 0x7fffffff, v1
	s_mov_b32 s12, 0x43f00000
	v_cmp_gt_u32_e32 vcc, s12, v2
                                        ; implicit-def: $vgpr0
	s_and_saveexec_b64 s[12:13], vcc
	s_xor_b64 s[12:13], exec, s[12:13]
	s_cbranch_execz .LBB19_1054
; %bb.1049:
	s_mov_b32 s14, 0x3c7fffff
	v_cmp_lt_u32_e32 vcc, s14, v2
                                        ; implicit-def: $vgpr0
	s_and_saveexec_b64 s[14:15], vcc
	s_xor_b64 s[14:15], exec, s[14:15]
; %bb.1050:
	v_bfe_u32 v0, v1, 20, 1
	s_mov_b32 s16, 0x407ffff
	v_add3_u32 v0, v1, v0, s16
	v_lshrrev_b32_e32 v2, 20, v0
	v_and_b32_e32 v0, 0xff00000, v0
	s_mov_b32 s16, 0x7f00000
	v_mov_b32_e32 v5, 0x7e
	v_cmp_ne_u32_e32 vcc, s16, v0
	v_cndmask_b32_e32 v0, v5, v2, vcc
; %bb.1051:
	s_andn2_saveexec_b64 s[14:15], s[14:15]
; %bb.1052:
	s_mov_b32 s16, 0x46800000
	v_add_f32_e64 v0, |v1|, s16
; %bb.1053:
	s_or_b64 exec, exec, s[14:15]
                                        ; implicit-def: $vgpr2
.LBB19_1054:
	s_andn2_saveexec_b64 s[12:13], s[12:13]
; %bb.1055:
	s_mov_b32 s14, 0x7f800000
	v_mov_b32_e32 v0, 0x7e
	v_mov_b32_e32 v5, 0x7f
	v_cmp_lt_u32_e32 vcc, s14, v2
	v_cndmask_b32_e32 v0, v0, v5, vcc
; %bb.1056:
	s_or_b64 exec, exec, s[12:13]
	v_lshrrev_b32_e32 v2, 24, v1
	s_movk_i32 s12, 0x80
	v_and_or_b32 v0, v2, s12, v0
	global_store_byte v[3:4], v0, off
.LBB19_1057:
	s_mov_b64 s[12:13], 0
.LBB19_1058:
	s_andn2_b64 vcc, exec, s[12:13]
	s_cbranch_vccnz .LBB19_1068
; %bb.1059:
	v_and_b32_e32 v2, 0x7fffffff, v1
	s_mov_b32 s12, 0x47800000
	v_cmp_gt_u32_e32 vcc, s12, v2
                                        ; implicit-def: $vgpr0
	s_and_saveexec_b64 s[12:13], vcc
	s_xor_b64 s[12:13], exec, s[12:13]
	s_cbranch_execz .LBB19_1065
; %bb.1060:
	s_mov_b32 s14, 0x387fffff
	v_cmp_lt_u32_e32 vcc, s14, v2
                                        ; implicit-def: $vgpr0
	s_and_saveexec_b64 s[14:15], vcc
	s_xor_b64 s[14:15], exec, s[14:15]
; %bb.1061:
	v_bfe_u32 v0, v1, 21, 1
	s_mov_b32 s16, 0x80fffff
	v_add3_u32 v0, v1, v0, s16
	v_lshrrev_b32_e32 v0, 21, v0
; %bb.1062:
	s_andn2_saveexec_b64 s[14:15], s[14:15]
; %bb.1063:
	s_mov_b32 s16, 0x43000000
	v_add_f32_e64 v0, |v1|, s16
; %bb.1064:
	s_or_b64 exec, exec, s[14:15]
                                        ; implicit-def: $vgpr2
.LBB19_1065:
	s_andn2_saveexec_b64 s[12:13], s[12:13]
; %bb.1066:
	s_mov_b32 s14, 0x7f800000
	v_mov_b32_e32 v0, 0x7c
	v_mov_b32_e32 v5, 0x7f
	v_cmp_lt_u32_e32 vcc, s14, v2
	v_cndmask_b32_e32 v0, v0, v5, vcc
; %bb.1067:
	s_or_b64 exec, exec, s[12:13]
	v_lshrrev_b32_e32 v2, 24, v1
	s_movk_i32 s12, 0x80
	v_and_or_b32 v0, v2, s12, v0
	global_store_byte v[3:4], v0, off
.LBB19_1068:
	s_mov_b64 s[12:13], 0
.LBB19_1069:
	s_andn2_b64 vcc, exec, s[12:13]
	s_mov_b64 s[12:13], 0
	s_cbranch_vccnz .LBB19_1077
; %bb.1070:
	s_cmp_gt_i32 s19, 14
	s_mov_b64 s[14:15], -1
	s_cbranch_scc0 .LBB19_1074
; %bb.1071:
	s_cmp_eq_u32 s19, 15
	s_mov_b64 s[0:1], -1
	s_cbranch_scc0 .LBB19_1073
; %bb.1072:
	v_bfe_u32 v0, v1, 16, 1
	s_movk_i32 s0, 0x7fff
	v_add3_u32 v0, v1, v0, s0
	v_cmp_o_f32_e32 vcc, v1, v1
	v_mov_b32_e32 v2, 0x7fc0
	v_cndmask_b32_sdwa v0, v2, v0, vcc dst_sel:DWORD dst_unused:UNUSED_PAD src0_sel:DWORD src1_sel:WORD_1
	global_store_short v[3:4], v0, off
	s_mov_b64 s[0:1], 0
.LBB19_1073:
	s_mov_b64 s[14:15], 0
.LBB19_1074:
	s_and_b64 vcc, exec, s[14:15]
	s_cbranch_vccz .LBB19_1077
; %bb.1075:
	s_cmp_lg_u32 s19, 11
	s_cselect_b64 s[14:15], -1, 0
	s_andn2_b64 s[0:1], s[0:1], exec
	s_and_b64 s[14:15], s[14:15], exec
	s_mov_b64 s[12:13], -1
	s_or_b64 s[0:1], s[0:1], s[14:15]
	s_branch .LBB19_1077
.LBB19_1076:
	s_mov_b64 s[12:13], 0
.LBB19_1077:
	s_andn2_b64 s[14:15], s[52:53], exec
	s_and_b64 s[0:1], s[0:1], exec
	s_and_b64 s[10:11], s[10:11], exec
	;; [unrolled: 1-line block ×3, first 2 shown]
	s_or_b64 s[52:53], s[14:15], s[0:1]
	s_or_b64 exec, exec, s[8:9]
	s_and_saveexec_b64 s[0:1], s[52:53]
	s_cbranch_execz .LBB19_1016
.LBB19_1078:
	s_or_b64 s[2:3], s[2:3], exec
	s_andn2_b64 s[12:13], s[12:13], exec
	s_trap 2
	s_or_b64 exec, exec, s[0:1]
	s_and_saveexec_b64 s[0:1], s[12:13]
	s_xor_b64 s[0:1], exec, s[0:1]
	s_cbranch_execnz .LBB19_1017
.LBB19_1079:
	s_or_b64 exec, exec, s[0:1]
	s_and_saveexec_b64 s[0:1], s[10:11]
	s_xor_b64 s[0:1], exec, s[0:1]
	s_cbranch_execz .LBB19_1117
.LBB19_1080:
	s_sext_i32_i16 s10, s18
	s_cmp_lt_i32 s10, 5
	s_mov_b64 s[8:9], -1
	s_cbranch_scc1 .LBB19_1101
; %bb.1081:
	s_cmp_lt_i32 s10, 8
	s_cbranch_scc1 .LBB19_1091
; %bb.1082:
	s_cmp_lt_i32 s10, 9
	s_cbranch_scc1 .LBB19_1088
; %bb.1083:
	s_cmp_gt_i32 s10, 9
	s_cbranch_scc0 .LBB19_1085
; %bb.1084:
	s_waitcnt vmcnt(0)
	v_cvt_f64_f32_e32 v[5:6], v1
	v_mov_b32_e32 v7, 0
	v_mov_b32_e32 v8, v7
	s_mov_b64 s[8:9], 0
	global_store_dwordx4 v[3:4], v[5:8], off
.LBB19_1085:
	s_andn2_b64 vcc, exec, s[8:9]
	s_cbranch_vccnz .LBB19_1087
; %bb.1086:
	v_mov_b32_e32 v2, 0
	s_waitcnt vmcnt(0)
	global_store_dwordx2 v[3:4], v[1:2], off
.LBB19_1087:
	s_mov_b64 s[8:9], 0
.LBB19_1088:
	s_andn2_b64 vcc, exec, s[8:9]
	s_cbranch_vccnz .LBB19_1090
; %bb.1089:
	v_cvt_f16_f32_e32 v0, v1
	s_waitcnt vmcnt(0)
	global_store_dword v[3:4], v0, off
.LBB19_1090:
	s_mov_b64 s[8:9], 0
.LBB19_1091:
	s_andn2_b64 vcc, exec, s[8:9]
	s_cbranch_vccnz .LBB19_1100
; %bb.1092:
	s_sext_i32_i16 s10, s18
	s_cmp_lt_i32 s10, 6
	s_mov_b64 s[8:9], -1
	s_cbranch_scc1 .LBB19_1098
; %bb.1093:
	s_cmp_gt_i32 s10, 6
	s_cbranch_scc0 .LBB19_1095
; %bb.1094:
	s_waitcnt vmcnt(0)
	v_cvt_f64_f32_e32 v[5:6], v1
	s_mov_b64 s[8:9], 0
	global_store_dwordx2 v[3:4], v[5:6], off
.LBB19_1095:
	s_andn2_b64 vcc, exec, s[8:9]
	s_cbranch_vccnz .LBB19_1097
; %bb.1096:
	s_waitcnt vmcnt(0)
	global_store_dword v[3:4], v1, off
.LBB19_1097:
	s_mov_b64 s[8:9], 0
.LBB19_1098:
	s_andn2_b64 vcc, exec, s[8:9]
	s_cbranch_vccnz .LBB19_1100
; %bb.1099:
	v_cvt_f16_f32_e32 v0, v1
	s_waitcnt vmcnt(0)
	global_store_short v[3:4], v0, off
.LBB19_1100:
	s_mov_b64 s[8:9], 0
.LBB19_1101:
	s_andn2_b64 vcc, exec, s[8:9]
	s_cbranch_vccnz .LBB19_1117
; %bb.1102:
	s_sext_i32_i16 s10, s18
	s_cmp_lt_i32 s10, 2
	s_mov_b64 s[8:9], -1
	s_cbranch_scc1 .LBB19_1112
; %bb.1103:
	s_cmp_lt_i32 s10, 3
	s_cbranch_scc1 .LBB19_1109
; %bb.1104:
	s_cmp_gt_i32 s10, 3
	s_cbranch_scc0 .LBB19_1106
; %bb.1105:
	v_trunc_f32_e32 v0, v1
	s_mov_b32 s8, 0x2f800000
	v_mul_f32_e64 v2, |v0|, s8
	v_floor_f32_e32 v2, v2
	s_mov_b32 s8, 0xcf800000
	s_waitcnt vmcnt(0)
	v_cvt_u32_f32_e32 v5, v2
	v_fma_f32 v2, v2, s8, |v0|
	v_cvt_u32_f32_e32 v2, v2
	v_ashrrev_i32_e32 v0, 31, v0
	v_xor_b32_e32 v6, v5, v0
	s_mov_b64 s[8:9], 0
	v_xor_b32_e32 v2, v2, v0
	v_sub_co_u32_e32 v5, vcc, v2, v0
	v_subb_co_u32_e32 v6, vcc, v6, v0, vcc
	global_store_dwordx2 v[3:4], v[5:6], off
.LBB19_1106:
	s_andn2_b64 vcc, exec, s[8:9]
	s_cbranch_vccnz .LBB19_1108
; %bb.1107:
	v_cvt_i32_f32_e32 v0, v1
	s_waitcnt vmcnt(0)
	global_store_dword v[3:4], v0, off
.LBB19_1108:
	s_mov_b64 s[8:9], 0
.LBB19_1109:
	s_andn2_b64 vcc, exec, s[8:9]
	s_cbranch_vccnz .LBB19_1111
; %bb.1110:
	v_cvt_i32_f32_e32 v0, v1
	s_waitcnt vmcnt(0)
	global_store_short v[3:4], v0, off
.LBB19_1111:
	s_mov_b64 s[8:9], 0
.LBB19_1112:
	s_andn2_b64 vcc, exec, s[8:9]
	s_cbranch_vccnz .LBB19_1117
; %bb.1113:
	s_sext_i32_i16 s8, s18
	s_cmp_gt_i32 s8, 0
	s_mov_b64 s[8:9], -1
	s_cbranch_scc0 .LBB19_1115
; %bb.1114:
	v_cvt_i32_f32_e32 v0, v1
	s_mov_b64 s[8:9], 0
	s_waitcnt vmcnt(0)
	global_store_byte v[3:4], v0, off
.LBB19_1115:
	s_andn2_b64 vcc, exec, s[8:9]
	s_cbranch_vccnz .LBB19_1117
; %bb.1116:
	v_trunc_f32_e32 v0, v1
	s_mov_b32 s8, 0x2f800000
	v_mul_f32_e64 v1, |v0|, s8
	v_floor_f32_e32 v1, v1
	s_mov_b32 s8, 0xcf800000
	v_fma_f32 v1, v1, s8, |v0|
	v_cvt_u32_f32_e32 v1, v1
	v_ashrrev_i32_e32 v0, 31, v0
	v_xor_b32_e32 v1, v1, v0
	v_sub_u32_e32 v0, v1, v0
	s_waitcnt vmcnt(0)
	global_store_byte v[3:4], v0, off
.LBB19_1117:
	s_or_b64 exec, exec, s[0:1]
	s_waitcnt lgkmcnt(0)
	s_and_b64 s[28:29], s[2:3], exec
                                        ; implicit-def: $vgpr15
                                        ; implicit-def: $vgpr8
.LBB19_1118:
	s_or_saveexec_b64 s[30:31], s[42:43]
	s_mov_b64 s[0:1], 0
                                        ; implicit-def: $vgpr0_vgpr1
                                        ; implicit-def: $sgpr14
                                        ; implicit-def: $vgpr7
	s_xor_b64 exec, exec, s[30:31]
	s_cbranch_execz .LBB19_1800
; %bb.1119:
	v_cndmask_b32_e64 v0, 0, 1, s[40:41]
	v_cmp_ne_u32_e64 s[0:1], 1, v0
	s_andn2_b64 vcc, exec, s[40:41]
	s_cbranch_vccnz .LBB19_1125
; %bb.1120:
	s_cmp_lg_u32 s33, 0
	s_mov_b32 s36, 0
	s_cbranch_scc0 .LBB19_1126
; %bb.1121:
	s_min_u32 s37, s72, 15
	s_add_i32 s37, s37, 1
	s_cmp_eq_u32 s72, 2
	s_cbranch_scc1 .LBB19_1127
; %bb.1122:
	s_and_b32 s36, s37, 28
	s_add_u32 s2, s34, 0xc4
	s_addc_u32 s3, s35, 0
	v_mov_b32_e32 v13, 0
	s_mov_b32 s38, 0
	s_mov_b64 s[6:7], s[34:35]
	v_mov_b32_e32 v6, 0
	v_mov_b32_e32 v0, v8
.LBB19_1123:                            ; =>This Inner Loop Header: Depth=1
	s_load_dwordx8 s[16:23], s[6:7], 0x4
	s_load_dwordx4 s[24:27], s[6:7], 0x24
	s_load_dwordx8 s[8:15], s[2:3], 0x0
	s_add_u32 s6, s6, 48
	s_addc_u32 s7, s7, 0
	s_waitcnt lgkmcnt(0)
	v_mul_hi_u32 v1, s17, v0
	s_add_i32 s38, s38, 4
	s_add_u32 s2, s2, 32
	s_addc_u32 s3, s3, 0
	v_add_u32_e32 v1, v0, v1
	v_lshrrev_b32_e32 v1, s18, v1
	v_mul_lo_u32 v2, v1, s16
	s_waitcnt vmcnt(0)
	v_mul_hi_u32 v3, s20, v1
	s_cmp_lg_u32 s36, s38
	v_sub_u32_e32 v0, v0, v2
	v_add_u32_e32 v2, v1, v3
	v_mul_lo_u32 v3, v0, s8
	v_mul_lo_u32 v4, v0, s9
	v_lshrrev_b32_e32 v0, s21, v2
	v_mul_lo_u32 v2, v0, s19
	v_mul_hi_u32 v5, s23, v0
	v_sub_u32_e32 v1, v1, v2
	v_add_u32_e32 v2, v0, v5
	v_lshrrev_b32_e32 v2, s24, v2
	v_mul_hi_u32 v7, s26, v2
	v_mul_lo_u32 v9, v2, s22
	v_mul_lo_u32 v5, v1, s10
	;; [unrolled: 1-line block ×3, first 2 shown]
	v_sub_u32_e32 v9, v0, v9
	v_add_u32_e32 v0, v2, v7
	v_lshrrev_b32_e32 v0, s27, v0
	v_mul_lo_u32 v7, v0, s25
	v_mul_lo_u32 v10, v9, s12
	;; [unrolled: 1-line block ×3, first 2 shown]
	v_add3_u32 v3, v3, v6, v5
	v_sub_u32_e32 v2, v2, v7
	v_mul_lo_u32 v7, v2, s14
	v_mul_lo_u32 v2, v2, s15
	v_add3_u32 v1, v4, v13, v1
	v_add3_u32 v6, v10, v3, v7
	;; [unrolled: 1-line block ×3, first 2 shown]
	s_cbranch_scc1 .LBB19_1123
; %bb.1124:
	s_and_b32 s8, s37, 3
	s_cmp_eq_u32 s8, 0
	s_cbranch_scc0 .LBB19_1128
	s_branch .LBB19_1130
.LBB19_1125:
                                        ; implicit-def: $vgpr6
                                        ; implicit-def: $vgpr13
	s_branch .LBB19_1131
.LBB19_1126:
	v_mov_b32_e32 v6, 0
	v_mov_b32_e32 v13, 0
	s_branch .LBB19_1130
.LBB19_1127:
	v_mov_b32_e32 v6, 0
	v_mov_b32_e32 v13, 0
	;; [unrolled: 1-line block ×3, first 2 shown]
	s_and_b32 s8, s37, 3
	s_cmp_eq_u32 s8, 0
	s_cbranch_scc1 .LBB19_1130
.LBB19_1128:
	s_lshl_b32 s2, s36, 3
	s_add_u32 s2, s34, s2
	s_addc_u32 s3, s35, 0
	s_add_u32 s2, s2, 0xc4
	s_addc_u32 s3, s3, 0
	s_mul_i32 s6, s36, 12
	s_add_u32 s6, s34, s6
	s_addc_u32 s7, s35, 0
.LBB19_1129:                            ; =>This Inner Loop Header: Depth=1
	s_load_dwordx2 s[10:11], s[6:7], 0x4
	s_load_dword s9, s[6:7], 0xc
	s_load_dwordx2 s[12:13], s[2:3], 0x0
	s_add_u32 s6, s6, 12
	s_addc_u32 s7, s7, 0
	s_waitcnt lgkmcnt(0)
	v_mul_hi_u32 v1, s11, v0
	s_add_u32 s2, s2, 8
	s_addc_u32 s3, s3, 0
	s_add_i32 s8, s8, -1
	v_add_u32_e32 v1, v0, v1
	v_lshrrev_b32_e32 v1, s9, v1
	v_mul_lo_u32 v2, v1, s10
	s_cmp_lg_u32 s8, 0
	v_sub_u32_e32 v0, v0, v2
	v_mad_u64_u32 v[6:7], s[10:11], v0, s12, v[6:7]
	v_mad_u64_u32 v[13:14], s[10:11], v0, s13, v[13:14]
	v_mov_b32_e32 v0, v1
	s_cbranch_scc1 .LBB19_1129
.LBB19_1130:
	s_cbranch_execnz .LBB19_1133
.LBB19_1131:
	s_load_dwordx4 s[8:11], s[34:35], 0x4
	s_load_dwordx2 s[2:3], s[34:35], 0xc4
	s_cmp_lt_u32 s33, 2
	s_waitcnt lgkmcnt(0)
	v_mul_hi_u32 v0, s9, v8
	v_add_u32_e32 v0, v8, v0
	v_lshrrev_b32_e32 v0, s10, v0
	v_mul_lo_u32 v1, v0, s8
	v_sub_u32_e32 v1, v8, v1
	v_mul_lo_u32 v6, v1, s2
	v_mul_lo_u32 v13, v1, s3
	s_cbranch_scc1 .LBB19_1133
; %bb.1132:
	s_load_dwordx4 s[8:11], s[34:35], 0x10
	s_load_dwordx2 s[2:3], s[34:35], 0xcc
	s_waitcnt lgkmcnt(0)
	v_mul_hi_u32 v1, s9, v0
	v_add_u32_e32 v1, v0, v1
	v_lshrrev_b32_e32 v1, s10, v1
	v_mul_lo_u32 v1, v1, s8
	v_sub_u32_e32 v0, v0, v1
	v_mad_u64_u32 v[6:7], s[6:7], v0, s2, v[6:7]
	v_mad_u64_u32 v[13:14], s[2:3], v0, s3, v[13:14]
.LBB19_1133:
	s_and_b64 vcc, exec, s[0:1]
	v_add_u32_e32 v0, 0x80, v8
	s_cbranch_vccnz .LBB19_1139
; %bb.1134:
	s_cmp_lg_u32 s33, 0
	s_mov_b32 s36, 0
	s_cbranch_scc0 .LBB19_1140
; %bb.1135:
	s_min_u32 s37, s72, 15
	s_add_i32 s37, s37, 1
	s_cmp_eq_u32 s72, 2
	s_cbranch_scc1 .LBB19_1141
; %bb.1136:
	s_and_b32 s36, s37, 28
	s_add_u32 s2, s34, 0xc4
	s_addc_u32 s3, s35, 0
	v_mov_b32_e32 v11, 0
	s_mov_b32 s38, 0
	s_mov_b64 s[6:7], s[34:35]
	v_mov_b32_e32 v4, 0
	v_mov_b32_e32 v1, v0
.LBB19_1137:                            ; =>This Inner Loop Header: Depth=1
	s_load_dwordx8 s[16:23], s[6:7], 0x4
	s_load_dwordx4 s[24:27], s[6:7], 0x24
	s_load_dwordx8 s[8:15], s[2:3], 0x0
	s_add_u32 s6, s6, 48
	s_addc_u32 s7, s7, 0
	s_waitcnt lgkmcnt(0)
	v_mul_hi_u32 v2, s17, v1
	s_add_i32 s38, s38, 4
	s_add_u32 s2, s2, 32
	s_addc_u32 s3, s3, 0
	v_add_u32_e32 v2, v1, v2
	v_lshrrev_b32_e32 v2, s18, v2
	s_waitcnt vmcnt(0)
	v_mul_lo_u32 v3, v2, s16
	v_mul_hi_u32 v5, s20, v2
	s_cmp_lg_u32 s36, s38
	v_sub_u32_e32 v1, v1, v3
	v_add_u32_e32 v3, v2, v5
	v_mul_lo_u32 v5, v1, s8
	v_mul_lo_u32 v7, v1, s9
	v_lshrrev_b32_e32 v1, s21, v3
	v_mul_lo_u32 v3, v1, s19
	v_mul_hi_u32 v9, s23, v1
	v_sub_u32_e32 v2, v2, v3
	v_add_u32_e32 v3, v1, v9
	v_lshrrev_b32_e32 v3, s24, v3
	v_mul_hi_u32 v10, s26, v3
	v_mul_lo_u32 v12, v3, s22
	v_mul_lo_u32 v9, v2, s10
	;; [unrolled: 1-line block ×3, first 2 shown]
	v_sub_u32_e32 v12, v1, v12
	v_add_u32_e32 v1, v3, v10
	v_lshrrev_b32_e32 v1, s27, v1
	v_mul_lo_u32 v10, v1, s25
	v_mul_lo_u32 v14, v12, s12
	;; [unrolled: 1-line block ×3, first 2 shown]
	v_add3_u32 v4, v5, v4, v9
	v_sub_u32_e32 v3, v3, v10
	v_mul_lo_u32 v10, v3, s14
	v_mul_lo_u32 v3, v3, s15
	v_add3_u32 v2, v7, v11, v2
	v_add3_u32 v4, v14, v4, v10
	;; [unrolled: 1-line block ×3, first 2 shown]
	s_cbranch_scc1 .LBB19_1137
; %bb.1138:
	s_and_b32 s8, s37, 3
	s_cmp_eq_u32 s8, 0
	s_cbranch_scc0 .LBB19_1142
	s_branch .LBB19_1144
.LBB19_1139:
                                        ; implicit-def: $vgpr4
                                        ; implicit-def: $vgpr11
	s_branch .LBB19_1145
.LBB19_1140:
	v_mov_b32_e32 v4, 0
	v_mov_b32_e32 v11, 0
	s_branch .LBB19_1144
.LBB19_1141:
	v_mov_b32_e32 v4, 0
	v_mov_b32_e32 v11, 0
	;; [unrolled: 1-line block ×3, first 2 shown]
	s_and_b32 s8, s37, 3
	s_cmp_eq_u32 s8, 0
	s_cbranch_scc1 .LBB19_1144
.LBB19_1142:
	s_lshl_b32 s2, s36, 3
	s_add_u32 s2, s34, s2
	s_addc_u32 s3, s35, 0
	s_add_u32 s2, s2, 0xc4
	s_addc_u32 s3, s3, 0
	s_mul_i32 s6, s36, 12
	s_add_u32 s6, s34, s6
	s_addc_u32 s7, s35, 0
.LBB19_1143:                            ; =>This Inner Loop Header: Depth=1
	s_load_dwordx2 s[10:11], s[6:7], 0x4
	s_load_dword s9, s[6:7], 0xc
	s_load_dwordx2 s[12:13], s[2:3], 0x0
	s_add_u32 s6, s6, 12
	s_addc_u32 s7, s7, 0
	s_waitcnt lgkmcnt(0)
	v_mul_hi_u32 v2, s11, v1
	s_add_u32 s2, s2, 8
	s_addc_u32 s3, s3, 0
	s_add_i32 s8, s8, -1
	v_add_u32_e32 v2, v1, v2
	v_lshrrev_b32_e32 v2, s9, v2
	s_waitcnt vmcnt(0)
	v_mul_lo_u32 v3, v2, s10
	s_cmp_lg_u32 s8, 0
	v_sub_u32_e32 v1, v1, v3
	v_mad_u64_u32 v[4:5], s[10:11], v1, s12, v[4:5]
	v_mad_u64_u32 v[11:12], s[10:11], v1, s13, v[11:12]
	v_mov_b32_e32 v1, v2
	s_cbranch_scc1 .LBB19_1143
.LBB19_1144:
	s_cbranch_execnz .LBB19_1147
.LBB19_1145:
	s_load_dwordx4 s[8:11], s[34:35], 0x4
	s_load_dwordx2 s[2:3], s[34:35], 0xc4
	s_cmp_lt_u32 s33, 2
	s_waitcnt lgkmcnt(0)
	v_mul_hi_u32 v1, s9, v0
	v_add_u32_e32 v1, v0, v1
	v_lshrrev_b32_e32 v1, s10, v1
	v_mul_lo_u32 v2, v1, s8
	v_sub_u32_e32 v0, v0, v2
	v_mul_lo_u32 v4, v0, s2
	v_mul_lo_u32 v11, v0, s3
	s_cbranch_scc1 .LBB19_1147
; %bb.1146:
	s_load_dwordx4 s[8:11], s[34:35], 0x10
	s_load_dwordx2 s[2:3], s[34:35], 0xcc
	s_waitcnt lgkmcnt(0)
	v_mul_hi_u32 v0, s9, v1
	v_add_u32_e32 v0, v1, v0
	v_lshrrev_b32_e32 v0, s10, v0
	v_mul_lo_u32 v0, v0, s8
	v_sub_u32_e32 v0, v1, v0
	s_waitcnt vmcnt(0)
	v_mad_u64_u32 v[4:5], s[6:7], v0, s2, v[4:5]
	v_mad_u64_u32 v[11:12], s[2:3], v0, s3, v[11:12]
.LBB19_1147:
	s_and_b64 vcc, exec, s[0:1]
	v_add_u32_e32 v0, 0x100, v8
	s_cbranch_vccnz .LBB19_1153
; %bb.1148:
	s_cmp_lg_u32 s33, 0
	s_mov_b32 s36, 0
	s_cbranch_scc0 .LBB19_1154
; %bb.1149:
	s_min_u32 s37, s72, 15
	s_add_i32 s37, s37, 1
	s_cmp_eq_u32 s72, 2
	s_cbranch_scc1 .LBB19_1155
; %bb.1150:
	s_and_b32 s36, s37, 28
	s_add_u32 s2, s34, 0xc4
	s_addc_u32 s3, s35, 0
	v_mov_b32_e32 v9, 0
	s_mov_b32 s38, 0
	s_mov_b64 s[6:7], s[34:35]
	v_mov_b32_e32 v2, 0
	v_mov_b32_e32 v1, v0
.LBB19_1151:                            ; =>This Inner Loop Header: Depth=1
	s_load_dwordx8 s[16:23], s[6:7], 0x4
	s_load_dwordx4 s[24:27], s[6:7], 0x24
	s_load_dwordx8 s[8:15], s[2:3], 0x0
	s_add_u32 s6, s6, 48
	s_addc_u32 s7, s7, 0
	s_waitcnt vmcnt(0) lgkmcnt(0)
	v_mul_hi_u32 v3, s17, v1
	s_add_i32 s38, s38, 4
	s_add_u32 s2, s2, 32
	s_addc_u32 s3, s3, 0
	v_add_u32_e32 v3, v1, v3
	v_lshrrev_b32_e32 v3, s18, v3
	v_mul_lo_u32 v5, v3, s16
	v_mul_hi_u32 v7, s20, v3
	s_cmp_lg_u32 s36, s38
	v_sub_u32_e32 v1, v1, v5
	v_add_u32_e32 v5, v3, v7
	v_mul_lo_u32 v7, v1, s8
	v_mul_lo_u32 v8, v1, s9
	v_lshrrev_b32_e32 v1, s21, v5
	v_mul_lo_u32 v5, v1, s19
	v_mul_hi_u32 v10, s23, v1
	v_sub_u32_e32 v3, v3, v5
	v_add_u32_e32 v5, v1, v10
	v_lshrrev_b32_e32 v5, s24, v5
	v_mul_hi_u32 v12, s26, v5
	v_mul_lo_u32 v14, v5, s22
	v_mul_lo_u32 v10, v3, s10
	;; [unrolled: 1-line block ×3, first 2 shown]
	v_sub_u32_e32 v14, v1, v14
	v_add_u32_e32 v1, v5, v12
	v_lshrrev_b32_e32 v1, s27, v1
	v_mul_lo_u32 v12, v1, s25
	v_mul_lo_u32 v16, v14, s12
	;; [unrolled: 1-line block ×3, first 2 shown]
	v_add3_u32 v2, v7, v2, v10
	v_sub_u32_e32 v5, v5, v12
	v_mul_lo_u32 v12, v5, s14
	v_mul_lo_u32 v5, v5, s15
	v_add3_u32 v3, v8, v9, v3
	v_add3_u32 v2, v16, v2, v12
	;; [unrolled: 1-line block ×3, first 2 shown]
	s_cbranch_scc1 .LBB19_1151
; %bb.1152:
	s_and_b32 s8, s37, 3
	s_cmp_eq_u32 s8, 0
	s_cbranch_scc0 .LBB19_1156
	s_branch .LBB19_1158
.LBB19_1153:
                                        ; implicit-def: $vgpr2
                                        ; implicit-def: $vgpr9
	s_branch .LBB19_1159
.LBB19_1154:
	v_mov_b32_e32 v2, 0
	v_mov_b32_e32 v9, 0
	s_branch .LBB19_1158
.LBB19_1155:
	v_mov_b32_e32 v2, 0
	v_mov_b32_e32 v9, 0
	;; [unrolled: 1-line block ×3, first 2 shown]
	s_and_b32 s8, s37, 3
	s_cmp_eq_u32 s8, 0
	s_cbranch_scc1 .LBB19_1158
.LBB19_1156:
	s_lshl_b32 s2, s36, 3
	s_add_u32 s2, s34, s2
	s_addc_u32 s3, s35, 0
	s_add_u32 s2, s2, 0xc4
	s_addc_u32 s3, s3, 0
	s_mul_i32 s6, s36, 12
	s_add_u32 s6, s34, s6
	s_addc_u32 s7, s35, 0
.LBB19_1157:                            ; =>This Inner Loop Header: Depth=1
	s_load_dwordx2 s[10:11], s[6:7], 0x4
	s_load_dword s9, s[6:7], 0xc
	s_load_dwordx2 s[12:13], s[2:3], 0x0
	s_add_u32 s6, s6, 12
	s_addc_u32 s7, s7, 0
	s_waitcnt vmcnt(0) lgkmcnt(0)
	v_mul_hi_u32 v3, s11, v1
	s_add_u32 s2, s2, 8
	s_addc_u32 s3, s3, 0
	s_add_i32 s8, s8, -1
	v_add_u32_e32 v3, v1, v3
	v_lshrrev_b32_e32 v5, s9, v3
	v_mul_lo_u32 v3, v5, s10
	s_cmp_lg_u32 s8, 0
	v_sub_u32_e32 v1, v1, v3
	v_mad_u64_u32 v[2:3], s[10:11], v1, s12, v[2:3]
	v_mad_u64_u32 v[9:10], s[10:11], v1, s13, v[9:10]
	v_mov_b32_e32 v1, v5
	s_cbranch_scc1 .LBB19_1157
.LBB19_1158:
	s_cbranch_execnz .LBB19_1161
.LBB19_1159:
	s_load_dwordx4 s[8:11], s[34:35], 0x4
	s_load_dwordx2 s[2:3], s[34:35], 0xc4
	s_cmp_lt_u32 s33, 2
	s_waitcnt lgkmcnt(0)
	v_mul_hi_u32 v1, s9, v0
	v_add_u32_e32 v1, v0, v1
	v_lshrrev_b32_e32 v1, s10, v1
	v_mul_lo_u32 v2, v1, s8
	v_sub_u32_e32 v0, v0, v2
	v_mul_lo_u32 v2, v0, s2
	v_mul_lo_u32 v9, v0, s3
	s_cbranch_scc1 .LBB19_1161
; %bb.1160:
	s_load_dwordx4 s[8:11], s[34:35], 0x10
	s_load_dwordx2 s[2:3], s[34:35], 0xcc
	s_waitcnt lgkmcnt(0)
	v_mul_hi_u32 v0, s9, v1
	v_add_u32_e32 v0, v1, v0
	v_lshrrev_b32_e32 v0, s10, v0
	v_mul_lo_u32 v0, v0, s8
	v_sub_u32_e32 v0, v1, v0
	s_waitcnt vmcnt(0)
	v_mad_u64_u32 v[2:3], s[6:7], v0, s2, v[2:3]
	v_mad_u64_u32 v[9:10], s[2:3], v0, s3, v[9:10]
.LBB19_1161:
	s_and_b64 vcc, exec, s[0:1]
	s_cbranch_vccnz .LBB19_1167
; %bb.1162:
	s_cmp_lg_u32 s33, 0
	s_mov_b32 s26, 0
	s_cbranch_scc0 .LBB19_1168
; %bb.1163:
	s_min_u32 s27, s72, 15
	s_add_i32 s27, s27, 1
	s_cmp_eq_u32 s72, 2
	s_cbranch_scc1 .LBB19_1169
; %bb.1164:
	s_and_b32 s26, s27, 28
	s_add_u32 s6, s34, 0xc4
	s_addc_u32 s7, s35, 0
	v_mov_b32_e32 v7, 0
	s_mov_b32 s36, 0
	s_mov_b64 s[24:25], s[34:35]
	v_mov_b32_e32 v0, 0
	v_mov_b32_e32 v1, v15
.LBB19_1165:                            ; =>This Inner Loop Header: Depth=1
	s_load_dwordx8 s[16:23], s[24:25], 0x4
	s_load_dwordx4 s[0:3], s[24:25], 0x24
	s_load_dwordx8 s[8:15], s[6:7], 0x0
	s_add_u32 s24, s24, 48
	s_addc_u32 s25, s25, 0
	s_waitcnt vmcnt(0) lgkmcnt(0)
	v_mul_hi_u32 v3, s17, v1
	s_add_i32 s36, s36, 4
	s_add_u32 s6, s6, 32
	s_addc_u32 s7, s7, 0
	v_add_u32_e32 v3, v1, v3
	v_lshrrev_b32_e32 v3, s18, v3
	v_mul_lo_u32 v5, v3, s16
	v_mul_hi_u32 v8, s20, v3
	s_cmp_lg_u32 s26, s36
	v_sub_u32_e32 v1, v1, v5
	v_add_u32_e32 v5, v3, v8
	v_mul_lo_u32 v8, v1, s8
	v_mul_lo_u32 v10, v1, s9
	v_lshrrev_b32_e32 v1, s21, v5
	v_mul_lo_u32 v5, v1, s19
	v_mul_hi_u32 v12, s23, v1
	v_sub_u32_e32 v3, v3, v5
	v_add_u32_e32 v5, v1, v12
	v_lshrrev_b32_e32 v5, s0, v5
	v_mul_hi_u32 v14, s2, v5
	v_mul_lo_u32 v16, v5, s22
	v_mul_lo_u32 v12, v3, s10
	;; [unrolled: 1-line block ×3, first 2 shown]
	v_sub_u32_e32 v16, v1, v16
	v_add_u32_e32 v1, v5, v14
	v_lshrrev_b32_e32 v1, s3, v1
	v_mul_lo_u32 v14, v1, s1
	v_mul_lo_u32 v17, v16, s12
	;; [unrolled: 1-line block ×3, first 2 shown]
	v_add3_u32 v0, v8, v0, v12
	v_sub_u32_e32 v5, v5, v14
	v_mul_lo_u32 v14, v5, s14
	v_mul_lo_u32 v5, v5, s15
	v_add3_u32 v3, v10, v7, v3
	v_add3_u32 v0, v17, v0, v14
	;; [unrolled: 1-line block ×3, first 2 shown]
	s_cbranch_scc1 .LBB19_1165
; %bb.1166:
	s_and_b32 s6, s27, 3
	s_cmp_eq_u32 s6, 0
	s_cbranch_scc0 .LBB19_1170
	s_branch .LBB19_1172
.LBB19_1167:
                                        ; implicit-def: $vgpr0
                                        ; implicit-def: $vgpr7
	s_branch .LBB19_1173
.LBB19_1168:
	v_mov_b32_e32 v0, 0
	v_mov_b32_e32 v7, 0
	s_branch .LBB19_1172
.LBB19_1169:
	v_mov_b32_e32 v0, 0
	v_mov_b32_e32 v7, 0
	;; [unrolled: 1-line block ×3, first 2 shown]
	s_and_b32 s6, s27, 3
	s_cmp_eq_u32 s6, 0
	s_cbranch_scc1 .LBB19_1172
.LBB19_1170:
	s_lshl_b32 s0, s26, 3
	s_add_u32 s0, s34, s0
	s_addc_u32 s1, s35, 0
	s_add_u32 s0, s0, 0xc4
	s_addc_u32 s1, s1, 0
	s_mul_i32 s2, s26, 12
	s_add_u32 s2, s34, s2
	s_addc_u32 s3, s35, 0
.LBB19_1171:                            ; =>This Inner Loop Header: Depth=1
	s_load_dwordx2 s[8:9], s[2:3], 0x4
	s_load_dword s7, s[2:3], 0xc
	s_load_dwordx2 s[10:11], s[0:1], 0x0
	s_add_u32 s2, s2, 12
	s_addc_u32 s3, s3, 0
	s_waitcnt vmcnt(0) lgkmcnt(0)
	v_mul_hi_u32 v3, s9, v1
	s_add_u32 s0, s0, 8
	s_addc_u32 s1, s1, 0
	s_add_i32 s6, s6, -1
	v_add_u32_e32 v3, v1, v3
	v_lshrrev_b32_e32 v3, s7, v3
	v_mul_lo_u32 v5, v3, s8
	s_cmp_lg_u32 s6, 0
	v_sub_u32_e32 v5, v1, v5
	v_mad_u64_u32 v[0:1], s[8:9], v5, s10, v[0:1]
	v_mad_u64_u32 v[7:8], s[8:9], v5, s11, v[7:8]
	v_mov_b32_e32 v1, v3
	s_cbranch_scc1 .LBB19_1171
.LBB19_1172:
	s_cbranch_execnz .LBB19_1175
.LBB19_1173:
	s_load_dwordx4 s[0:3], s[34:35], 0x4
	s_load_dwordx2 s[6:7], s[34:35], 0xc4
	s_cmp_lt_u32 s33, 2
	s_waitcnt lgkmcnt(0)
	v_mul_hi_u32 v0, s1, v15
	v_add_u32_e32 v0, v15, v0
	v_lshrrev_b32_e32 v1, s2, v0
	v_mul_lo_u32 v0, v1, s0
	s_waitcnt vmcnt(0)
	v_sub_u32_e32 v3, v15, v0
	v_mul_lo_u32 v0, v3, s6
	v_mul_lo_u32 v7, v3, s7
	s_cbranch_scc1 .LBB19_1175
; %bb.1174:
	s_load_dwordx4 s[0:3], s[34:35], 0x10
	s_load_dwordx2 s[6:7], s[34:35], 0xcc
	s_waitcnt lgkmcnt(0)
	v_mul_hi_u32 v3, s1, v1
	v_add_u32_e32 v3, v1, v3
	v_lshrrev_b32_e32 v3, s2, v3
	v_mul_lo_u32 v3, v3, s0
	v_sub_u32_e32 v3, v1, v3
	v_mad_u64_u32 v[0:1], s[0:1], v3, s6, v[0:1]
	v_mad_u64_u32 v[7:8], s[0:1], v3, s7, v[7:8]
.LBB19_1175:
	s_load_dwordx4 s[8:11], s[34:35], 0x148
	s_load_dword s16, s[4:5], 0x160
	s_waitcnt lgkmcnt(0)
	v_mov_b32_e32 v1, s11
	s_bfe_u32 s14, s16, 0x80010
	v_add_co_u32_e32 v12, vcc, s10, v13
	s_cmp_lt_i32 s14, 11
	v_addc_co_u32_e32 v13, vcc, 0, v1, vcc
	s_cbranch_scc1 .LBB19_1182
; %bb.1176:
	s_and_b32 s15, 0xffff, s14
	s_cmp_gt_i32 s15, 25
	s_mov_b64 s[4:5], 0
	s_cbranch_scc0 .LBB19_1184
; %bb.1177:
	s_cmp_gt_i32 s15, 28
	s_cbranch_scc0 .LBB19_1185
; %bb.1178:
	s_cmp_gt_i32 s15, 43
	;; [unrolled: 3-line block ×3, first 2 shown]
	s_cbranch_scc0 .LBB19_1187
; %bb.1180:
	s_cmp_eq_u32 s15, 46
	s_mov_b64 s[2:3], 0
	s_cbranch_scc0 .LBB19_1190
; %bb.1181:
	global_load_dword v1, v[12:13], off
	s_mov_b64 s[0:1], 0
	s_mov_b64 s[6:7], -1
	s_waitcnt vmcnt(0)
	v_lshlrev_b32_e32 v1, 16, v1
	s_branch .LBB19_1191
.LBB19_1182:
	s_mov_b64 s[6:7], 0
                                        ; implicit-def: $vgpr1
	s_mov_b64 s[2:3], s[28:29]
	s_cbranch_execnz .LBB19_1254
.LBB19_1183:
	s_andn2_b64 vcc, exec, s[6:7]
	s_cbranch_vccz .LBB19_1299
	s_branch .LBB19_1797
.LBB19_1184:
	s_mov_b64 s[6:7], 0
	s_mov_b64 s[0:1], 0
                                        ; implicit-def: $vgpr1
	s_cbranch_execnz .LBB19_1219
	s_branch .LBB19_1250
.LBB19_1185:
	s_mov_b64 s[2:3], -1
	s_mov_b64 s[6:7], 0
	s_mov_b64 s[0:1], 0
                                        ; implicit-def: $vgpr1
	s_branch .LBB19_1200
.LBB19_1186:
	s_mov_b64 s[6:7], 0
	s_mov_b64 s[0:1], 0
                                        ; implicit-def: $vgpr1
	s_cbranch_execnz .LBB19_1196
	s_branch .LBB19_1199
.LBB19_1187:
	s_mov_b64 s[2:3], -1
	s_mov_b64 s[6:7], 0
	s_mov_b64 s[0:1], 0
                                        ; implicit-def: $vgpr1
	s_branch .LBB19_1191
.LBB19_1188:
	s_andn2_saveexec_b64 s[14:15], s[14:15]
	s_cbranch_execz .LBB19_1031
.LBB19_1189:
	s_mov_b32 s16, 0x46000000
	v_add_f32_e64 v0, |v1|, s16
	v_and_b32_e32 v0, 0xff, v0
	v_cmp_ne_u32_e32 vcc, 0, v0
	s_andn2_b64 s[12:13], s[12:13], exec
	s_and_b64 s[16:17], vcc, exec
	s_or_b64 s[12:13], s[12:13], s[16:17]
	s_or_b64 exec, exec, s[14:15]
	v_mov_b32_e32 v2, 0
	s_and_saveexec_b64 s[14:15], s[12:13]
	s_cbranch_execnz .LBB19_1032
	s_branch .LBB19_1033
.LBB19_1190:
	s_mov_b64 s[0:1], -1
                                        ; implicit-def: $vgpr1
	s_mov_b64 s[6:7], 0
.LBB19_1191:
	s_and_b64 vcc, exec, s[2:3]
	s_cbranch_vccz .LBB19_1194
; %bb.1192:
	s_cmp_eq_u32 s15, 44
	s_cbranch_scc0 .LBB19_1195
; %bb.1193:
	global_load_ubyte v1, v[12:13], off
	s_movk_i32 s2, 0xff
	s_waitcnt vmcnt(1)
	v_mov_b32_e32 v3, 0x7f800001
	v_mov_b32_e32 v5, 0x400000
	s_mov_b64 s[0:1], 0
	s_mov_b64 s[6:7], -1
	s_waitcnt vmcnt(0)
	v_lshlrev_b32_e32 v8, 23, v1
	v_cmp_ne_u32_e32 vcc, s2, v1
	v_cndmask_b32_e32 v3, v3, v8, vcc
	v_cmp_ne_u32_e32 vcc, 0, v1
	v_cndmask_b32_e32 v1, v5, v3, vcc
.LBB19_1194:
	s_branch .LBB19_1199
.LBB19_1195:
	s_mov_b64 s[0:1], -1
                                        ; implicit-def: $vgpr1
	s_branch .LBB19_1199
.LBB19_1196:
	s_cmp_eq_u32 s15, 29
	s_cbranch_scc0 .LBB19_1198
; %bb.1197:
	global_load_dwordx2 v[14:15], v[12:13], off
	s_mov_b64 s[0:1], 0
	s_mov_b64 s[6:7], -1
	s_mov_b64 s[2:3], 0
	s_waitcnt vmcnt(0)
	v_ffbh_u32_e32 v1, v15
	v_min_u32_e32 v1, 32, v1
	v_lshlrev_b64 v[14:15], v1, v[14:15]
	v_sub_u32_e32 v1, 32, v1
	v_min_u32_e32 v3, 1, v14
	v_or_b32_e32 v3, v15, v3
	v_cvt_f32_u32_e32 v3, v3
	v_ldexp_f32 v1, v3, v1
	s_branch .LBB19_1200
.LBB19_1198:
	s_mov_b64 s[0:1], -1
                                        ; implicit-def: $vgpr1
.LBB19_1199:
	s_mov_b64 s[2:3], 0
.LBB19_1200:
	s_and_b64 vcc, exec, s[2:3]
	s_cbranch_vccz .LBB19_1218
; %bb.1201:
	s_cmp_lt_i32 s15, 27
	s_cbranch_scc1 .LBB19_1204
; %bb.1202:
	s_cmp_gt_i32 s15, 27
	s_cbranch_scc0 .LBB19_1205
; %bb.1203:
	global_load_dword v1, v[12:13], off
	s_mov_b64 s[2:3], 0
	s_waitcnt vmcnt(0)
	v_cvt_f32_u32_e32 v1, v1
	s_branch .LBB19_1206
.LBB19_1204:
	s_mov_b64 s[2:3], -1
                                        ; implicit-def: $vgpr1
	s_branch .LBB19_1209
.LBB19_1205:
	s_mov_b64 s[2:3], -1
                                        ; implicit-def: $vgpr1
.LBB19_1206:
	s_andn2_b64 vcc, exec, s[2:3]
	s_cbranch_vccnz .LBB19_1208
; %bb.1207:
	global_load_ushort v1, v[12:13], off
	s_waitcnt vmcnt(0)
	v_cvt_f32_u32_e32 v1, v1
.LBB19_1208:
	s_mov_b64 s[2:3], 0
.LBB19_1209:
	s_andn2_b64 vcc, exec, s[2:3]
	s_cbranch_vccnz .LBB19_1217
; %bb.1210:
	global_load_ubyte v3, v[12:13], off
	s_movk_i32 s2, 0x7f
	s_waitcnt vmcnt(0)
	v_cmp_lt_i16_e32 vcc, s2, v3
	s_mov_b64 s[2:3], 0
	s_and_saveexec_b64 s[6:7], vcc
	s_xor_b64 s[6:7], exec, s[6:7]
	s_cbranch_execz .LBB19_1230
; %bb.1211:
	s_movk_i32 s2, 0x80
	v_cmp_eq_u16_e32 vcc, s2, v3
	s_mov_b64 s[2:3], -1
	s_and_saveexec_b64 s[12:13], vcc
; %bb.1212:
	s_xor_b64 s[2:3], exec, -1
; %bb.1213:
	s_or_b64 exec, exec, s[12:13]
	s_and_b64 s[2:3], s[2:3], exec
	s_or_saveexec_b64 s[6:7], s[6:7]
	v_mov_b32_e32 v1, 0x7f800001
	s_xor_b64 exec, exec, s[6:7]
	s_cbranch_execnz .LBB19_1231
.LBB19_1214:
	s_or_b64 exec, exec, s[6:7]
	s_and_saveexec_b64 s[6:7], s[2:3]
	s_cbranch_execz .LBB19_1216
.LBB19_1215:
	v_lshlrev_b32_e32 v1, 24, v3
	v_and_b32_e32 v3, 0xffff, v3
	v_and_b32_e32 v5, 7, v3
	v_ffbh_u32_e32 v10, v5
	v_min_u32_e32 v10, 32, v10
	v_subrev_u32_e32 v14, 28, v10
	v_bfe_u32 v8, v3, 3, 4
	v_lshlrev_b32_e32 v3, v14, v3
	v_sub_u32_e32 v10, 29, v10
	v_and_b32_e32 v3, 7, v3
	v_cmp_eq_u32_e32 vcc, 0, v8
	v_cndmask_b32_e32 v8, v8, v10, vcc
	v_cndmask_b32_e32 v3, v5, v3, vcc
	v_mov_b32_e32 v5, 0x3b800000
	v_lshlrev_b32_e32 v3, 20, v3
	v_and_b32_e32 v1, 0x80000000, v1
	v_lshl_add_u32 v5, v8, 23, v5
	v_or3_b32 v1, v1, v5, v3
.LBB19_1216:
	s_or_b64 exec, exec, s[6:7]
.LBB19_1217:
	s_mov_b64 s[6:7], -1
.LBB19_1218:
	s_branch .LBB19_1250
.LBB19_1219:
	s_cmp_gt_i32 s15, 22
	s_cbranch_scc0 .LBB19_1229
; %bb.1220:
	s_cmp_lt_i32 s15, 24
	s_cbranch_scc1 .LBB19_1232
; %bb.1221:
	s_cmp_gt_i32 s15, 24
	s_cbranch_scc0 .LBB19_1233
; %bb.1222:
	global_load_ubyte v3, v[12:13], off
	s_movk_i32 s2, 0x7f
	s_waitcnt vmcnt(0)
	v_cmp_lt_i16_e32 vcc, s2, v3
	s_mov_b64 s[2:3], 0
	s_and_saveexec_b64 s[4:5], vcc
	s_xor_b64 s[4:5], exec, s[4:5]
	s_cbranch_execz .LBB19_1244
; %bb.1223:
	s_movk_i32 s2, 0x80
	v_cmp_eq_u16_e32 vcc, s2, v3
	s_mov_b64 s[2:3], -1
	s_and_saveexec_b64 s[6:7], vcc
; %bb.1224:
	s_xor_b64 s[2:3], exec, -1
; %bb.1225:
	s_or_b64 exec, exec, s[6:7]
	s_and_b64 s[2:3], s[2:3], exec
	s_or_saveexec_b64 s[4:5], s[4:5]
	v_mov_b32_e32 v1, 0x7f800001
	s_xor_b64 exec, exec, s[4:5]
	s_cbranch_execnz .LBB19_1245
.LBB19_1226:
	s_or_b64 exec, exec, s[4:5]
	s_and_saveexec_b64 s[4:5], s[2:3]
	s_cbranch_execz .LBB19_1228
.LBB19_1227:
	v_lshlrev_b32_e32 v1, 24, v3
	v_and_b32_e32 v3, 0xffff, v3
	v_and_b32_e32 v5, 3, v3
	v_ffbh_u32_e32 v10, v5
	v_min_u32_e32 v10, 32, v10
	v_subrev_u32_e32 v14, 29, v10
	v_bfe_u32 v8, v3, 2, 5
	v_lshlrev_b32_e32 v3, v14, v3
	v_sub_u32_e32 v10, 30, v10
	v_and_b32_e32 v3, 3, v3
	v_cmp_eq_u32_e32 vcc, 0, v8
	v_cndmask_b32_e32 v8, v8, v10, vcc
	v_cndmask_b32_e32 v3, v5, v3, vcc
	v_mov_b32_e32 v5, 0x37800000
	v_lshlrev_b32_e32 v3, 21, v3
	v_and_b32_e32 v1, 0x80000000, v1
	v_lshl_add_u32 v5, v8, 23, v5
	v_or3_b32 v1, v1, v5, v3
.LBB19_1228:
	s_or_b64 exec, exec, s[4:5]
	s_mov_b64 s[2:3], 0
	s_branch .LBB19_1234
.LBB19_1229:
                                        ; implicit-def: $vgpr1
	s_mov_b64 s[4:5], 0
	s_branch .LBB19_1240
.LBB19_1230:
	s_or_saveexec_b64 s[6:7], s[6:7]
	v_mov_b32_e32 v1, 0x7f800001
	s_xor_b64 exec, exec, s[6:7]
	s_cbranch_execz .LBB19_1214
.LBB19_1231:
	v_cmp_ne_u16_e32 vcc, 0, v3
	s_andn2_b64 s[2:3], s[2:3], exec
	s_and_b64 s[12:13], vcc, exec
	v_mov_b32_e32 v1, 0
	s_or_b64 s[2:3], s[2:3], s[12:13]
	s_or_b64 exec, exec, s[6:7]
	s_and_saveexec_b64 s[6:7], s[2:3]
	s_cbranch_execnz .LBB19_1215
	s_branch .LBB19_1216
.LBB19_1232:
	s_mov_b64 s[2:3], -1
                                        ; implicit-def: $vgpr1
	s_branch .LBB19_1237
.LBB19_1233:
	s_mov_b64 s[2:3], -1
                                        ; implicit-def: $vgpr1
.LBB19_1234:
	s_and_b64 vcc, exec, s[2:3]
	s_cbranch_vccz .LBB19_1236
; %bb.1235:
	global_load_ubyte v1, v[12:13], off
	s_mov_b32 s2, 0x7f800000
	s_waitcnt vmcnt(0)
	v_lshlrev_b32_e32 v1, 24, v1
	v_and_b32_e32 v3, 0x7f000000, v1
	v_ffbh_u32_e32 v5, v3
	v_min_u32_e32 v5, 32, v5
	v_sub_u32_e64 v5, v5, 4 clamp
	v_lshlrev_b32_e32 v10, v5, v3
	v_lshlrev_b32_e32 v5, 23, v5
	v_lshrrev_b32_e32 v10, 4, v10
	v_add_u32_e32 v8, 0x1000000, v3
	v_sub_u32_e32 v5, v10, v5
	v_ashrrev_i32_e32 v8, 8, v8
	v_add_u32_e32 v5, 0x3c000000, v5
	v_and_or_b32 v5, v8, s2, v5
	v_cmp_ne_u32_e32 vcc, 0, v3
	v_cndmask_b32_e32 v3, 0, v5, vcc
	s_brev_b32 s2, 1
	v_and_or_b32 v1, v1, s2, v3
.LBB19_1236:
	s_mov_b64 s[2:3], 0
.LBB19_1237:
	s_andn2_b64 vcc, exec, s[2:3]
	s_cbranch_vccnz .LBB19_1239
; %bb.1238:
	global_load_ubyte v1, v[12:13], off
	s_movk_i32 s2, 0x7f00
	s_brev_b32 s3, 16
	s_waitcnt vmcnt(0)
	v_lshlrev_b16_e32 v3, 8, v1
	v_lshlrev_b32_e32 v1, 25, v1
	v_lshrrev_b32_e32 v5, 4, v1
	v_and_or_b32 v8, v3, s2, 0.5
	v_or_b32_e32 v5, 0x70000000, v5
	v_add_f32_e32 v8, -0.5, v8
	v_mul_f32_e32 v5, 0x7800000, v5
	v_cmp_gt_u32_e32 vcc, s3, v1
	v_bfe_i32 v3, v3, 0, 16
	v_cndmask_b32_e32 v1, v5, v8, vcc
	s_brev_b32 s2, 1
	v_and_or_b32 v1, v3, s2, v1
.LBB19_1239:
	s_mov_b64 s[6:7], -1
	s_mov_b64 s[4:5], 0
	s_cbranch_execnz .LBB19_1250
.LBB19_1240:
	s_cmp_gt_i32 s15, 14
	s_cbranch_scc0 .LBB19_1243
; %bb.1241:
	s_cmp_eq_u32 s15, 15
	s_cbranch_scc0 .LBB19_1246
; %bb.1242:
	global_load_ushort v1, v[12:13], off
	s_mov_b64 s[0:1], 0
	s_mov_b64 s[6:7], -1
	s_waitcnt vmcnt(0)
	v_lshlrev_b32_e32 v1, 16, v1
	s_branch .LBB19_1247
.LBB19_1243:
	s_mov_b64 s[2:3], -1
                                        ; implicit-def: $vgpr1
	s_branch .LBB19_1248
.LBB19_1244:
	s_or_saveexec_b64 s[4:5], s[4:5]
	v_mov_b32_e32 v1, 0x7f800001
	s_xor_b64 exec, exec, s[4:5]
	s_cbranch_execz .LBB19_1226
.LBB19_1245:
	v_cmp_ne_u16_e32 vcc, 0, v3
	s_andn2_b64 s[2:3], s[2:3], exec
	s_and_b64 s[6:7], vcc, exec
	v_mov_b32_e32 v1, 0
	s_or_b64 s[2:3], s[2:3], s[6:7]
	s_or_b64 exec, exec, s[4:5]
	s_and_saveexec_b64 s[4:5], s[2:3]
	s_cbranch_execnz .LBB19_1227
	s_branch .LBB19_1228
.LBB19_1246:
	s_mov_b64 s[0:1], -1
                                        ; implicit-def: $vgpr1
.LBB19_1247:
	s_mov_b64 s[2:3], 0
.LBB19_1248:
	s_and_b64 vcc, exec, s[2:3]
	s_cbranch_vccz .LBB19_1250
; %bb.1249:
	s_cmp_lg_u32 s15, 11
	s_mov_b64 s[4:5], -1
	s_cselect_b64 s[0:1], -1, 0
.LBB19_1250:
	s_and_b64 vcc, exec, s[0:1]
	s_mov_b64 s[2:3], s[28:29]
	s_cbranch_vccnz .LBB19_1319
; %bb.1251:
	s_andn2_b64 vcc, exec, s[4:5]
	s_cbranch_vccnz .LBB19_1253
.LBB19_1252:
	global_load_ubyte v1, v[12:13], off
	s_mov_b64 s[6:7], -1
	s_waitcnt vmcnt(0)
	v_cmp_ne_u16_e32 vcc, 0, v1
	v_cndmask_b32_e64 v1, 0, 1.0, vcc
.LBB19_1253:
	s_branch .LBB19_1183
.LBB19_1254:
	s_and_b32 s4, 0xffff, s14
	s_cmp_lt_i32 s4, 5
	s_cbranch_scc1 .LBB19_1259
; %bb.1255:
	s_cmp_lt_i32 s4, 8
	s_cbranch_scc1 .LBB19_1260
; %bb.1256:
	;; [unrolled: 3-line block ×3, first 2 shown]
	s_cmp_gt_i32 s4, 9
	s_cbranch_scc0 .LBB19_1262
; %bb.1258:
	global_load_dwordx2 v[14:15], v[12:13], off
	s_mov_b64 s[0:1], 0
	s_waitcnt vmcnt(0)
	v_cvt_f32_f64_e32 v1, v[14:15]
	s_branch .LBB19_1263
.LBB19_1259:
                                        ; implicit-def: $vgpr1
	s_branch .LBB19_1280
.LBB19_1260:
                                        ; implicit-def: $vgpr1
	s_branch .LBB19_1269
.LBB19_1261:
	s_mov_b64 s[0:1], -1
                                        ; implicit-def: $vgpr1
	s_branch .LBB19_1266
.LBB19_1262:
	s_mov_b64 s[0:1], -1
                                        ; implicit-def: $vgpr1
.LBB19_1263:
	s_andn2_b64 vcc, exec, s[0:1]
	s_cbranch_vccnz .LBB19_1265
; %bb.1264:
	global_load_dword v1, v[12:13], off
.LBB19_1265:
	s_mov_b64 s[0:1], 0
.LBB19_1266:
	s_andn2_b64 vcc, exec, s[0:1]
	s_cbranch_vccnz .LBB19_1268
; %bb.1267:
	global_load_dword v1, v[12:13], off
	s_waitcnt vmcnt(0)
	v_cvt_f32_f16_e32 v1, v1
.LBB19_1268:
	s_cbranch_execnz .LBB19_1279
.LBB19_1269:
	s_cmp_lt_i32 s4, 6
	s_cbranch_scc1 .LBB19_1272
; %bb.1270:
	s_cmp_gt_i32 s4, 6
	s_cbranch_scc0 .LBB19_1273
; %bb.1271:
	global_load_dwordx2 v[14:15], v[12:13], off
	s_mov_b64 s[0:1], 0
	s_waitcnt vmcnt(0)
	v_cvt_f32_f64_e32 v1, v[14:15]
	s_branch .LBB19_1274
.LBB19_1272:
	s_mov_b64 s[0:1], -1
                                        ; implicit-def: $vgpr1
	s_branch .LBB19_1277
.LBB19_1273:
	s_mov_b64 s[0:1], -1
                                        ; implicit-def: $vgpr1
.LBB19_1274:
	s_andn2_b64 vcc, exec, s[0:1]
	s_cbranch_vccnz .LBB19_1276
; %bb.1275:
	global_load_dword v1, v[12:13], off
.LBB19_1276:
	s_mov_b64 s[0:1], 0
.LBB19_1277:
	s_andn2_b64 vcc, exec, s[0:1]
	s_cbranch_vccnz .LBB19_1279
; %bb.1278:
	global_load_ushort v1, v[12:13], off
	s_waitcnt vmcnt(0)
	v_cvt_f32_f16_e32 v1, v1
.LBB19_1279:
	s_cbranch_execnz .LBB19_1298
.LBB19_1280:
	s_cmp_lt_i32 s4, 2
	s_cbranch_scc1 .LBB19_1284
; %bb.1281:
	s_cmp_lt_i32 s4, 3
	s_cbranch_scc1 .LBB19_1285
; %bb.1282:
	s_cmp_gt_i32 s4, 3
	s_cbranch_scc0 .LBB19_1286
; %bb.1283:
	global_load_dwordx2 v[14:15], v[12:13], off
	s_mov_b64 s[0:1], 0
	s_waitcnt vmcnt(0)
	v_xor_b32_e32 v3, v14, v15
	v_ffbh_i32_e32 v1, v15
	v_ashrrev_i32_e32 v3, 31, v3
	v_add_u32_e32 v1, -1, v1
	v_add_u32_e32 v3, 32, v3
	v_min_u32_e32 v1, v1, v3
	v_lshlrev_b64 v[14:15], v1, v[14:15]
	v_sub_u32_e32 v1, 32, v1
	v_min_u32_e32 v3, 1, v14
	v_or_b32_e32 v3, v15, v3
	v_cvt_f32_i32_e32 v3, v3
	v_ldexp_f32 v1, v3, v1
	s_branch .LBB19_1287
.LBB19_1284:
                                        ; implicit-def: $vgpr1
	s_branch .LBB19_1293
.LBB19_1285:
	s_mov_b64 s[0:1], -1
                                        ; implicit-def: $vgpr1
	s_branch .LBB19_1290
.LBB19_1286:
	s_mov_b64 s[0:1], -1
                                        ; implicit-def: $vgpr1
.LBB19_1287:
	s_andn2_b64 vcc, exec, s[0:1]
	s_cbranch_vccnz .LBB19_1289
; %bb.1288:
	global_load_dword v1, v[12:13], off
	s_waitcnt vmcnt(0)
	v_cvt_f32_i32_e32 v1, v1
.LBB19_1289:
	s_mov_b64 s[0:1], 0
.LBB19_1290:
	s_andn2_b64 vcc, exec, s[0:1]
	s_cbranch_vccnz .LBB19_1292
; %bb.1291:
	global_load_sshort v1, v[12:13], off
	s_waitcnt vmcnt(0)
	v_cvt_f32_i32_e32 v1, v1
.LBB19_1292:
	s_cbranch_execnz .LBB19_1298
.LBB19_1293:
	s_cmp_gt_i32 s4, 0
	s_cbranch_scc0 .LBB19_1295
; %bb.1294:
	global_load_sbyte v1, v[12:13], off
	s_mov_b64 s[0:1], 0
	s_waitcnt vmcnt(0)
	v_cvt_f32_i32_e32 v1, v1
	s_branch .LBB19_1296
.LBB19_1295:
	s_mov_b64 s[0:1], -1
                                        ; implicit-def: $vgpr1
.LBB19_1296:
	s_andn2_b64 vcc, exec, s[0:1]
	s_cbranch_vccnz .LBB19_1298
; %bb.1297:
	global_load_ubyte v1, v[12:13], off
	s_waitcnt vmcnt(0)
	v_cvt_f32_ubyte0_e32 v1, v1
.LBB19_1298:
.LBB19_1299:
	s_waitcnt vmcnt(0)
	v_cmp_neq_f32_e32 vcc, 0, v1
	v_mov_b32_e32 v5, 0x7f800000
	s_and_saveexec_b64 s[4:5], vcc
	s_cbranch_execz .LBB19_1307
; %bb.1300:
	v_cmp_ngt_f32_e32 vcc, 0, v1
	v_mov_b32_e32 v5, 0x7fc00000
	s_and_saveexec_b64 s[6:7], vcc
	s_cbranch_execz .LBB19_1306
; %bb.1301:
	v_cmp_ge_f32_e32 vcc, 2.0, v1
                                        ; implicit-def: $vgpr5
	s_and_saveexec_b64 s[0:1], vcc
	s_xor_b64 s[12:13], exec, s[0:1]
	s_cbranch_execz .LBB19_1303
; %bb.1302:
	v_fma_f32 v3, v1, v1, -2.0
	v_mov_b32_e32 v5, 0x293fd856
	v_fmac_f32_e32 v5, 0x251e770f, v3
	v_mov_b32_e32 v8, 0xa51e770f
	v_fmac_f32_e32 v8, v3, v5
	v_add_f32_e32 v8, 0x2d3612e2, v8
	v_fma_f32 v5, v3, v8, -v5
	v_add_f32_e32 v5, 0x3102e09b, v5
	v_fma_f32 v8, v3, v5, -v8
	v_add_f32_e32 v8, 0x348815e7, v8
	v_fma_f32 v5, v3, v8, -v5
	v_add_f32_e32 v5, 0x37bfc808, v5
	v_fma_f32 v8, v3, v5, -v8
	v_add_f32_e32 v8, 0x3aa5c174, v8
	v_fma_f32 v5, v3, v8, -v5
	v_add_f32_e32 v5, 0x3d135fb3, v5
	v_fma_f32 v8, v3, v5, -v8
	v_add_f32_e32 v8, 0x3eb046c4, v8
	v_fma_f32 v3, v3, v8, -v5
	v_mul_f32_e32 v8, 0.5, v1
	s_mov_b32 s0, 0x800000
	v_cmp_gt_f32_e32 vcc, s0, v8
	v_cndmask_b32_e64 v10, 0, 32, vcc
	v_ldexp_f32 v8, v8, v10
	v_log_f32_e32 v8, v8
	v_add_f32_e32 v3, 0xbf090b37, v3
	v_sub_f32_e32 v3, v3, v5
	s_mov_b32 s0, 0x3f317217
	v_mul_f32_e32 v5, 0x3f317217, v8
	v_fma_f32 v5, v8, s0, -v5
	v_fmac_f32_e32 v5, 0x3377d1cf, v8
	s_mov_b32 s0, 0x7f800000
	v_fmac_f32_e32 v5, 0x3f317217, v8
	v_cmp_lt_f32_e64 s[0:1], |v8|, s0
	v_cndmask_b32_e64 v5, v8, v5, s[0:1]
	v_mul_f32_e32 v8, 0x3fb8aa3b, v1
	s_mov_b32 s0, 0x3fb8aa3b
	v_rndne_f32_e32 v10, v8
	v_sub_f32_e32 v12, v8, v10
	v_fma_f32 v8, v1, s0, -v8
	v_fmac_f32_e32 v8, 0x32a5705f, v1
	v_add_f32_e32 v8, v12, v8
	v_exp_f32_e32 v8, v8
	v_cvt_i32_f32_e32 v10, v10
	v_mov_b32_e32 v12, 0x41b17218
	s_mov_b32 s0, 0xc2ce8ed0
	v_cndmask_b32_e32 v12, 0, v12, vcc
	v_ldexp_f32 v8, v8, v10
	v_cmp_ngt_f32_e32 vcc, s0, v1
	s_mov_b32 s0, 0x42b17218
	v_cndmask_b32_e32 v8, 0, v8, vcc
	v_mov_b32_e32 v10, 0x7f800000
	v_cmp_nlt_f32_e32 vcc, s0, v1
	v_cndmask_b32_e32 v8, v10, v8, vcc
	v_fma_f32 v1, v1, 0.5, -2.0
	v_mov_b32_e32 v10, 0x24199b15
	v_sub_f32_e32 v5, v5, v12
	v_fmac_f32_e32 v10, 0xa2a2e5b9, v1
	v_mov_b32_e32 v12, 0x22a2e5b9
	v_fmac_f32_e32 v12, v1, v10
	v_add_f32_e32 v12, 0xa58c275c, v12
	v_fma_f32 v10, v1, v12, -v10
	v_add_f32_e32 v10, 0x26f736c5, v10
	v_fma_f32 v12, v1, v10, -v12
	;; [unrolled: 2-line block ×27, first 2 shown]
	v_add_f32_e32 v1, 0x3f2d4275, v1
	v_sub_f32_e32 v1, v1, v10
	v_mul_f32_e32 v1, 0.5, v1
	v_mul_f32_e32 v1, v8, v1
	v_mul_f32_e32 v1, v5, v1
	v_fma_f32 v1, v3, 0.5, -v1
	v_mul_f32_e32 v5, v8, v1
                                        ; implicit-def: $vgpr1
.LBB19_1303:
	s_andn2_saveexec_b64 s[12:13], s[12:13]
	s_cbranch_execz .LBB19_1305
; %bb.1304:
	s_mov_b32 s14, 0x41000000
	v_div_scale_f32 v3, s[0:1], v1, v1, s14
	v_div_scale_f32 v5, vcc, s14, v1, s14
	s_mov_b32 s0, 0xf800000
	v_mul_f32_e32 v8, 0x4f800000, v1
	v_cmp_gt_f32_e64 s[0:1], s0, v1
	v_cndmask_b32_e64 v8, v1, v8, s[0:1]
	v_sqrt_f32_e32 v12, v8
	v_add_u32_e32 v15, 1, v12
	v_fma_f32 v17, -v15, v12, v8
	v_rcp_f32_e32 v10, v3
	v_fma_f32 v13, -v3, v10, 1.0
	v_fmac_f32_e32 v10, v13, v10
	v_mul_f32_e32 v13, v5, v10
	v_fma_f32 v14, -v3, v13, v5
	v_fmac_f32_e32 v13, v14, v10
	v_fma_f32 v3, -v3, v13, v5
	v_div_fmas_f32 v3, v3, v10, v13
	v_mov_b32_e32 v5, 0xa397f665
	v_mov_b32_e32 v10, 0xa2c38d2e
	v_add_u32_e32 v14, -1, v12
	v_fma_f32 v16, -v14, v12, v8
	v_cmp_ge_f32_e32 vcc, 0, v16
	v_cndmask_b32_e32 v12, v12, v14, vcc
	v_cmp_lt_f32_e32 vcc, 0, v17
	v_cndmask_b32_e32 v12, v12, v15, vcc
	v_mov_b32_e32 v13, 0x260
	v_mul_f32_e32 v14, 0x37800000, v12
	v_cndmask_b32_e64 v12, v12, v14, s[0:1]
	v_cmp_class_f32_e32 vcc, v8, v13
	v_cndmask_b32_e32 v8, v12, v8, vcc
	v_div_fixup_f32 v1, v3, v1, s14
	v_add_f32_e32 v1, -2.0, v1
	v_fmac_f32_e32 v5, 0x22c38d2e, v1
	v_fmac_f32_e32 v10, v1, v5
	v_add_f32_e32 v3, 0x24704972, v10
	v_fma_f32 v5, v1, v3, -v5
	v_add_f32_e32 v5, 0xa5417ca4, v5
	v_fma_f32 v3, v1, v5, -v3
	;; [unrolled: 2-line block ×22, first 2 shown]
	v_add_f32_e32 v1, 0x401c2ded, v1
	v_sub_f32_e32 v1, v1, v3
	v_mul_f32_e32 v1, 0.5, v1
	v_div_scale_f32 v3, s[0:1], v8, v8, v1
	v_div_scale_f32 v5, vcc, v1, v8, v1
	v_rcp_f32_e32 v10, v3
	v_fma_f32 v12, -v3, v10, 1.0
	v_fmac_f32_e32 v10, v12, v10
	v_mul_f32_e32 v12, v5, v10
	v_fma_f32 v13, -v3, v12, v5
	v_fmac_f32_e32 v12, v13, v10
	v_fma_f32 v3, -v3, v12, v5
	v_div_fmas_f32 v3, v3, v10, v12
	v_div_fixup_f32 v5, v3, v8, v1
.LBB19_1305:
	s_or_b64 exec, exec, s[12:13]
.LBB19_1306:
	s_or_b64 exec, exec, s[6:7]
.LBB19_1307:
	s_or_b64 exec, exec, s[4:5]
	s_lshr_b32 s0, s16, 16
	v_mov_b32_e32 v1, s11
	s_and_b32 s17, s0, 0xff
	v_add_co_u32_e32 v10, vcc, s10, v11
	s_cmp_lt_i32 s17, 11
	v_addc_co_u32_e32 v11, vcc, 0, v1, vcc
	s_cbranch_scc1 .LBB19_1314
; %bb.1308:
	s_and_b32 s18, 0xffff, s17
	s_cmp_gt_i32 s18, 25
	s_mov_b64 s[4:5], 0
	s_cbranch_scc0 .LBB19_1316
; %bb.1309:
	s_cmp_gt_i32 s18, 28
	s_cbranch_scc0 .LBB19_1317
; %bb.1310:
	s_cmp_gt_i32 s18, 43
	;; [unrolled: 3-line block ×3, first 2 shown]
	s_cbranch_scc0 .LBB19_1320
; %bb.1312:
	s_cmp_eq_u32 s18, 46
	s_mov_b64 s[12:13], 0
	s_cbranch_scc0 .LBB19_1323
; %bb.1313:
	global_load_dword v1, v[10:11], off
	s_mov_b64 s[0:1], 0
	s_mov_b64 s[6:7], -1
	s_waitcnt vmcnt(0)
	v_lshlrev_b32_e32 v1, 16, v1
	s_branch .LBB19_1324
.LBB19_1314:
	s_mov_b64 s[6:7], 0
                                        ; implicit-def: $vgpr1
	s_cbranch_execnz .LBB19_1389
.LBB19_1315:
	s_andn2_b64 vcc, exec, s[6:7]
	s_cbranch_vccnz .LBB19_1797
	s_branch .LBB19_1436
.LBB19_1316:
	s_mov_b64 s[6:7], 0
	s_mov_b64 s[0:1], 0
                                        ; implicit-def: $vgpr1
	s_cbranch_execnz .LBB19_1353
	s_branch .LBB19_1385
.LBB19_1317:
	s_mov_b64 s[12:13], -1
	s_mov_b64 s[6:7], 0
	s_mov_b64 s[0:1], 0
                                        ; implicit-def: $vgpr1
	s_branch .LBB19_1334
.LBB19_1318:
	s_mov_b64 s[12:13], -1
	s_mov_b64 s[6:7], 0
	s_mov_b64 s[0:1], 0
                                        ; implicit-def: $vgpr1
	s_branch .LBB19_1329
.LBB19_1319:
	s_or_b64 s[2:3], s[28:29], exec
	s_trap 2
	s_cbranch_execz .LBB19_1252
	s_branch .LBB19_1253
.LBB19_1320:
	s_mov_b64 s[12:13], -1
	s_mov_b64 s[6:7], 0
	s_mov_b64 s[0:1], 0
                                        ; implicit-def: $vgpr1
	s_branch .LBB19_1324
.LBB19_1321:
	s_andn2_saveexec_b64 s[16:17], s[16:17]
	s_cbranch_execz .LBB19_1043
.LBB19_1322:
	s_mov_b32 s20, 0x42800000
	v_add_f32_e64 v0, |v1|, s20
	v_and_b32_e32 v0, 0xff, v0
	v_cmp_ne_u32_e32 vcc, 0, v0
	s_andn2_b64 s[14:15], s[14:15], exec
	s_and_b64 s[20:21], vcc, exec
	s_or_b64 s[14:15], s[14:15], s[20:21]
	s_or_b64 exec, exec, s[16:17]
	v_mov_b32_e32 v2, 0
	s_and_saveexec_b64 s[16:17], s[14:15]
	s_cbranch_execnz .LBB19_1044
	s_branch .LBB19_1045
.LBB19_1323:
	s_mov_b64 s[0:1], -1
                                        ; implicit-def: $vgpr1
	s_mov_b64 s[6:7], 0
.LBB19_1324:
	s_and_b64 vcc, exec, s[12:13]
	s_cbranch_vccz .LBB19_1328
; %bb.1325:
	s_cmp_eq_u32 s18, 44
	s_cbranch_scc0 .LBB19_1327
; %bb.1326:
	global_load_ubyte v1, v[10:11], off
	s_movk_i32 s6, 0xff
	v_mov_b32_e32 v3, 0x7f800001
	v_mov_b32_e32 v8, 0x400000
	s_mov_b64 s[0:1], 0
	s_waitcnt vmcnt(0)
	v_lshlrev_b32_e32 v12, 23, v1
	v_cmp_ne_u32_e32 vcc, s6, v1
	v_cndmask_b32_e32 v3, v3, v12, vcc
	v_cmp_ne_u32_e32 vcc, 0, v1
	v_cndmask_b32_e32 v1, v8, v3, vcc
	s_mov_b64 s[6:7], -1
	s_branch .LBB19_1328
.LBB19_1327:
	s_mov_b64 s[0:1], -1
                                        ; implicit-def: $vgpr1
.LBB19_1328:
	s_mov_b64 s[12:13], 0
.LBB19_1329:
	s_and_b64 vcc, exec, s[12:13]
	s_cbranch_vccz .LBB19_1333
; %bb.1330:
	s_cmp_eq_u32 s18, 29
	s_cbranch_scc0 .LBB19_1332
; %bb.1331:
	global_load_dwordx2 v[12:13], v[10:11], off
	s_mov_b64 s[0:1], 0
	s_mov_b64 s[6:7], -1
	s_mov_b64 s[12:13], 0
	s_waitcnt vmcnt(0)
	v_ffbh_u32_e32 v1, v13
	v_min_u32_e32 v1, 32, v1
	v_lshlrev_b64 v[12:13], v1, v[12:13]
	v_sub_u32_e32 v1, 32, v1
	v_min_u32_e32 v3, 1, v12
	v_or_b32_e32 v3, v13, v3
	v_cvt_f32_u32_e32 v3, v3
	v_ldexp_f32 v1, v3, v1
	s_branch .LBB19_1334
.LBB19_1332:
	s_mov_b64 s[0:1], -1
                                        ; implicit-def: $vgpr1
.LBB19_1333:
	s_mov_b64 s[12:13], 0
.LBB19_1334:
	s_and_b64 vcc, exec, s[12:13]
	s_cbranch_vccz .LBB19_1352
; %bb.1335:
	s_cmp_lt_i32 s18, 27
	s_cbranch_scc1 .LBB19_1338
; %bb.1336:
	s_cmp_gt_i32 s18, 27
	s_cbranch_scc0 .LBB19_1339
; %bb.1337:
	global_load_dword v1, v[10:11], off
	s_mov_b64 s[6:7], 0
	s_waitcnt vmcnt(0)
	v_cvt_f32_u32_e32 v1, v1
	s_branch .LBB19_1340
.LBB19_1338:
	s_mov_b64 s[6:7], -1
                                        ; implicit-def: $vgpr1
	s_branch .LBB19_1343
.LBB19_1339:
	s_mov_b64 s[6:7], -1
                                        ; implicit-def: $vgpr1
.LBB19_1340:
	s_andn2_b64 vcc, exec, s[6:7]
	s_cbranch_vccnz .LBB19_1342
; %bb.1341:
	global_load_ushort v1, v[10:11], off
	s_waitcnt vmcnt(0)
	v_cvt_f32_u32_e32 v1, v1
.LBB19_1342:
	s_mov_b64 s[6:7], 0
.LBB19_1343:
	s_andn2_b64 vcc, exec, s[6:7]
	s_cbranch_vccnz .LBB19_1351
; %bb.1344:
	global_load_ubyte v3, v[10:11], off
	s_movk_i32 s6, 0x7f
	s_waitcnt vmcnt(0)
	v_cmp_lt_i16_e32 vcc, s6, v3
	s_mov_b64 s[6:7], 0
	s_and_saveexec_b64 s[12:13], vcc
	s_xor_b64 s[12:13], exec, s[12:13]
	s_cbranch_execz .LBB19_1364
; %bb.1345:
	s_movk_i32 s6, 0x80
	v_cmp_eq_u16_e32 vcc, s6, v3
	s_mov_b64 s[6:7], -1
	s_and_saveexec_b64 s[14:15], vcc
; %bb.1346:
	s_xor_b64 s[6:7], exec, -1
; %bb.1347:
	s_or_b64 exec, exec, s[14:15]
	s_and_b64 s[6:7], s[6:7], exec
	s_or_saveexec_b64 s[12:13], s[12:13]
	v_mov_b32_e32 v1, 0x7f800001
	s_xor_b64 exec, exec, s[12:13]
	s_cbranch_execnz .LBB19_1365
.LBB19_1348:
	s_or_b64 exec, exec, s[12:13]
	s_and_saveexec_b64 s[12:13], s[6:7]
	s_cbranch_execz .LBB19_1350
.LBB19_1349:
	v_lshlrev_b32_e32 v1, 24, v3
	v_and_b32_e32 v3, 0xffff, v3
	v_and_b32_e32 v8, 7, v3
	v_ffbh_u32_e32 v13, v8
	v_min_u32_e32 v13, 32, v13
	v_subrev_u32_e32 v14, 28, v13
	v_bfe_u32 v12, v3, 3, 4
	v_lshlrev_b32_e32 v3, v14, v3
	v_sub_u32_e32 v13, 29, v13
	v_and_b32_e32 v3, 7, v3
	v_cmp_eq_u32_e32 vcc, 0, v12
	v_cndmask_b32_e32 v12, v12, v13, vcc
	v_cndmask_b32_e32 v3, v8, v3, vcc
	v_mov_b32_e32 v8, 0x3b800000
	v_lshlrev_b32_e32 v3, 20, v3
	v_and_b32_e32 v1, 0x80000000, v1
	v_lshl_add_u32 v8, v12, 23, v8
	v_or3_b32 v1, v1, v8, v3
.LBB19_1350:
	s_or_b64 exec, exec, s[12:13]
.LBB19_1351:
	s_mov_b64 s[6:7], -1
.LBB19_1352:
	s_branch .LBB19_1385
.LBB19_1353:
	s_cmp_gt_i32 s18, 22
	s_cbranch_scc0 .LBB19_1363
; %bb.1354:
	s_cmp_lt_i32 s18, 24
	s_cbranch_scc1 .LBB19_1366
; %bb.1355:
	s_cmp_gt_i32 s18, 24
	s_cbranch_scc0 .LBB19_1367
; %bb.1356:
	global_load_ubyte v3, v[10:11], off
	s_movk_i32 s4, 0x7f
	s_waitcnt vmcnt(0)
	v_cmp_lt_i16_e32 vcc, s4, v3
	s_mov_b64 s[4:5], 0
	s_and_saveexec_b64 s[6:7], vcc
	s_xor_b64 s[6:7], exec, s[6:7]
	s_cbranch_execz .LBB19_1379
; %bb.1357:
	s_movk_i32 s4, 0x80
	v_cmp_eq_u16_e32 vcc, s4, v3
	s_mov_b64 s[4:5], -1
	s_and_saveexec_b64 s[12:13], vcc
; %bb.1358:
	s_xor_b64 s[4:5], exec, -1
; %bb.1359:
	s_or_b64 exec, exec, s[12:13]
	s_and_b64 s[4:5], s[4:5], exec
	s_or_saveexec_b64 s[6:7], s[6:7]
	v_mov_b32_e32 v1, 0x7f800001
	s_xor_b64 exec, exec, s[6:7]
	s_cbranch_execnz .LBB19_1380
.LBB19_1360:
	s_or_b64 exec, exec, s[6:7]
	s_and_saveexec_b64 s[6:7], s[4:5]
	s_cbranch_execz .LBB19_1362
.LBB19_1361:
	v_lshlrev_b32_e32 v1, 24, v3
	v_and_b32_e32 v3, 0xffff, v3
	v_and_b32_e32 v8, 3, v3
	v_ffbh_u32_e32 v13, v8
	v_min_u32_e32 v13, 32, v13
	v_subrev_u32_e32 v14, 29, v13
	v_bfe_u32 v12, v3, 2, 5
	v_lshlrev_b32_e32 v3, v14, v3
	v_sub_u32_e32 v13, 30, v13
	v_and_b32_e32 v3, 3, v3
	v_cmp_eq_u32_e32 vcc, 0, v12
	v_cndmask_b32_e32 v12, v12, v13, vcc
	v_cndmask_b32_e32 v3, v8, v3, vcc
	v_mov_b32_e32 v8, 0x37800000
	v_lshlrev_b32_e32 v3, 21, v3
	v_and_b32_e32 v1, 0x80000000, v1
	v_lshl_add_u32 v8, v12, 23, v8
	v_or3_b32 v1, v1, v8, v3
.LBB19_1362:
	s_or_b64 exec, exec, s[6:7]
	s_mov_b64 s[4:5], 0
	s_branch .LBB19_1368
.LBB19_1363:
	s_mov_b64 s[4:5], -1
                                        ; implicit-def: $vgpr1
	s_branch .LBB19_1374
.LBB19_1364:
	s_or_saveexec_b64 s[12:13], s[12:13]
	v_mov_b32_e32 v1, 0x7f800001
	s_xor_b64 exec, exec, s[12:13]
	s_cbranch_execz .LBB19_1348
.LBB19_1365:
	v_cmp_ne_u16_e32 vcc, 0, v3
	s_andn2_b64 s[6:7], s[6:7], exec
	s_and_b64 s[14:15], vcc, exec
	v_mov_b32_e32 v1, 0
	s_or_b64 s[6:7], s[6:7], s[14:15]
	s_or_b64 exec, exec, s[12:13]
	s_and_saveexec_b64 s[12:13], s[6:7]
	s_cbranch_execnz .LBB19_1349
	s_branch .LBB19_1350
.LBB19_1366:
	s_mov_b64 s[4:5], -1
                                        ; implicit-def: $vgpr1
	s_branch .LBB19_1371
.LBB19_1367:
	s_mov_b64 s[4:5], -1
                                        ; implicit-def: $vgpr1
.LBB19_1368:
	s_and_b64 vcc, exec, s[4:5]
	s_cbranch_vccz .LBB19_1370
; %bb.1369:
	global_load_ubyte v1, v[10:11], off
	s_mov_b32 s4, 0x7f800000
	s_waitcnt vmcnt(0)
	v_lshlrev_b32_e32 v1, 24, v1
	v_and_b32_e32 v3, 0x7f000000, v1
	v_ffbh_u32_e32 v8, v3
	v_min_u32_e32 v8, 32, v8
	v_sub_u32_e64 v8, v8, 4 clamp
	v_lshlrev_b32_e32 v13, v8, v3
	v_lshlrev_b32_e32 v8, 23, v8
	v_lshrrev_b32_e32 v13, 4, v13
	v_add_u32_e32 v12, 0x1000000, v3
	v_sub_u32_e32 v8, v13, v8
	v_ashrrev_i32_e32 v12, 8, v12
	v_add_u32_e32 v8, 0x3c000000, v8
	v_and_or_b32 v8, v12, s4, v8
	v_cmp_ne_u32_e32 vcc, 0, v3
	v_cndmask_b32_e32 v3, 0, v8, vcc
	s_brev_b32 s4, 1
	v_and_or_b32 v1, v1, s4, v3
.LBB19_1370:
	s_mov_b64 s[4:5], 0
.LBB19_1371:
	s_andn2_b64 vcc, exec, s[4:5]
	s_cbranch_vccnz .LBB19_1373
; %bb.1372:
	global_load_ubyte v1, v[10:11], off
	s_movk_i32 s4, 0x7f00
	s_brev_b32 s5, 16
	s_waitcnt vmcnt(0)
	v_lshlrev_b16_e32 v3, 8, v1
	v_lshlrev_b32_e32 v1, 25, v1
	v_lshrrev_b32_e32 v8, 4, v1
	v_and_or_b32 v12, v3, s4, 0.5
	v_or_b32_e32 v8, 0x70000000, v8
	v_add_f32_e32 v12, -0.5, v12
	v_mul_f32_e32 v8, 0x7800000, v8
	v_cmp_gt_u32_e32 vcc, s5, v1
	v_bfe_i32 v3, v3, 0, 16
	v_cndmask_b32_e32 v1, v8, v12, vcc
	s_brev_b32 s4, 1
	v_and_or_b32 v1, v3, s4, v1
.LBB19_1373:
	s_mov_b64 s[4:5], 0
	s_mov_b64 s[6:7], -1
.LBB19_1374:
	s_andn2_b64 vcc, exec, s[4:5]
	s_mov_b64 s[4:5], 0
	s_cbranch_vccnz .LBB19_1385
; %bb.1375:
	s_cmp_gt_i32 s18, 14
	s_cbranch_scc0 .LBB19_1378
; %bb.1376:
	s_cmp_eq_u32 s18, 15
	s_cbranch_scc0 .LBB19_1381
; %bb.1377:
	global_load_ushort v1, v[10:11], off
	s_mov_b64 s[0:1], 0
	s_mov_b64 s[6:7], -1
	s_waitcnt vmcnt(0)
	v_lshlrev_b32_e32 v1, 16, v1
	s_branch .LBB19_1382
.LBB19_1378:
	s_mov_b64 s[12:13], -1
                                        ; implicit-def: $vgpr1
	s_branch .LBB19_1383
.LBB19_1379:
	s_or_saveexec_b64 s[6:7], s[6:7]
	v_mov_b32_e32 v1, 0x7f800001
	s_xor_b64 exec, exec, s[6:7]
	s_cbranch_execz .LBB19_1360
.LBB19_1380:
	v_cmp_ne_u16_e32 vcc, 0, v3
	s_andn2_b64 s[4:5], s[4:5], exec
	s_and_b64 s[12:13], vcc, exec
	v_mov_b32_e32 v1, 0
	s_or_b64 s[4:5], s[4:5], s[12:13]
	s_or_b64 exec, exec, s[6:7]
	s_and_saveexec_b64 s[6:7], s[4:5]
	s_cbranch_execnz .LBB19_1361
	s_branch .LBB19_1362
.LBB19_1381:
	s_mov_b64 s[0:1], -1
                                        ; implicit-def: $vgpr1
.LBB19_1382:
	s_mov_b64 s[12:13], 0
.LBB19_1383:
	s_and_b64 vcc, exec, s[12:13]
	s_cbranch_vccz .LBB19_1385
; %bb.1384:
	s_cmp_lg_u32 s18, 11
	s_mov_b64 s[4:5], -1
	s_cselect_b64 s[0:1], -1, 0
.LBB19_1385:
	s_and_b64 vcc, exec, s[0:1]
	s_cbranch_vccnz .LBB19_1456
; %bb.1386:
	s_andn2_b64 vcc, exec, s[4:5]
	s_cbranch_vccnz .LBB19_1388
.LBB19_1387:
	global_load_ubyte v1, v[10:11], off
	s_mov_b64 s[6:7], -1
	s_waitcnt vmcnt(0)
	v_cmp_ne_u16_e32 vcc, 0, v1
	v_cndmask_b32_e64 v1, 0, 1.0, vcc
.LBB19_1388:
	s_branch .LBB19_1315
.LBB19_1389:
	s_and_b32 s4, 0xffff, s17
	s_cmp_lt_i32 s4, 5
	s_cbranch_scc1 .LBB19_1394
; %bb.1390:
	s_cmp_lt_i32 s4, 8
	s_cbranch_scc1 .LBB19_1395
; %bb.1391:
	;; [unrolled: 3-line block ×3, first 2 shown]
	s_cmp_gt_i32 s4, 9
	s_cbranch_scc0 .LBB19_1397
; %bb.1393:
	global_load_dwordx2 v[12:13], v[10:11], off
	s_mov_b64 s[0:1], 0
	s_waitcnt vmcnt(0)
	v_cvt_f32_f64_e32 v1, v[12:13]
	s_branch .LBB19_1398
.LBB19_1394:
                                        ; implicit-def: $vgpr1
	s_branch .LBB19_1416
.LBB19_1395:
	s_mov_b64 s[0:1], -1
                                        ; implicit-def: $vgpr1
	s_branch .LBB19_1404
.LBB19_1396:
	s_mov_b64 s[0:1], -1
                                        ; implicit-def: $vgpr1
	s_branch .LBB19_1401
.LBB19_1397:
	s_mov_b64 s[0:1], -1
                                        ; implicit-def: $vgpr1
.LBB19_1398:
	s_andn2_b64 vcc, exec, s[0:1]
	s_cbranch_vccnz .LBB19_1400
; %bb.1399:
	global_load_dword v1, v[10:11], off
.LBB19_1400:
	s_mov_b64 s[0:1], 0
.LBB19_1401:
	s_andn2_b64 vcc, exec, s[0:1]
	s_cbranch_vccnz .LBB19_1403
; %bb.1402:
	global_load_dword v1, v[10:11], off
	s_waitcnt vmcnt(0)
	v_cvt_f32_f16_e32 v1, v1
.LBB19_1403:
	s_mov_b64 s[0:1], 0
.LBB19_1404:
	s_andn2_b64 vcc, exec, s[0:1]
	s_cbranch_vccnz .LBB19_1415
; %bb.1405:
	s_cmp_lt_i32 s4, 6
	s_cbranch_scc1 .LBB19_1408
; %bb.1406:
	s_cmp_gt_i32 s4, 6
	s_cbranch_scc0 .LBB19_1409
; %bb.1407:
	global_load_dwordx2 v[12:13], v[10:11], off
	s_mov_b64 s[0:1], 0
	s_waitcnt vmcnt(0)
	v_cvt_f32_f64_e32 v1, v[12:13]
	s_branch .LBB19_1410
.LBB19_1408:
	s_mov_b64 s[0:1], -1
                                        ; implicit-def: $vgpr1
	s_branch .LBB19_1413
.LBB19_1409:
	s_mov_b64 s[0:1], -1
                                        ; implicit-def: $vgpr1
.LBB19_1410:
	s_andn2_b64 vcc, exec, s[0:1]
	s_cbranch_vccnz .LBB19_1412
; %bb.1411:
	global_load_dword v1, v[10:11], off
.LBB19_1412:
	s_mov_b64 s[0:1], 0
.LBB19_1413:
	s_andn2_b64 vcc, exec, s[0:1]
	s_cbranch_vccnz .LBB19_1415
; %bb.1414:
	global_load_ushort v1, v[10:11], off
	s_waitcnt vmcnt(0)
	v_cvt_f32_f16_e32 v1, v1
.LBB19_1415:
	s_cbranch_execnz .LBB19_1435
.LBB19_1416:
	s_cmp_lt_i32 s4, 2
	s_cbranch_scc1 .LBB19_1420
; %bb.1417:
	s_cmp_lt_i32 s4, 3
	s_cbranch_scc1 .LBB19_1421
; %bb.1418:
	s_cmp_gt_i32 s4, 3
	s_cbranch_scc0 .LBB19_1422
; %bb.1419:
	global_load_dwordx2 v[12:13], v[10:11], off
	s_mov_b64 s[0:1], 0
	s_waitcnt vmcnt(0)
	v_xor_b32_e32 v3, v12, v13
	v_ffbh_i32_e32 v1, v13
	v_ashrrev_i32_e32 v3, 31, v3
	v_add_u32_e32 v1, -1, v1
	v_add_u32_e32 v3, 32, v3
	v_min_u32_e32 v1, v1, v3
	v_lshlrev_b64 v[12:13], v1, v[12:13]
	v_sub_u32_e32 v1, 32, v1
	v_min_u32_e32 v3, 1, v12
	v_or_b32_e32 v3, v13, v3
	v_cvt_f32_i32_e32 v3, v3
	v_ldexp_f32 v1, v3, v1
	s_branch .LBB19_1423
.LBB19_1420:
	s_mov_b64 s[0:1], -1
                                        ; implicit-def: $vgpr1
	s_branch .LBB19_1429
.LBB19_1421:
	s_mov_b64 s[0:1], -1
                                        ; implicit-def: $vgpr1
	s_branch .LBB19_1426
.LBB19_1422:
	s_mov_b64 s[0:1], -1
                                        ; implicit-def: $vgpr1
.LBB19_1423:
	s_andn2_b64 vcc, exec, s[0:1]
	s_cbranch_vccnz .LBB19_1425
; %bb.1424:
	global_load_dword v1, v[10:11], off
	s_waitcnt vmcnt(0)
	v_cvt_f32_i32_e32 v1, v1
.LBB19_1425:
	s_mov_b64 s[0:1], 0
.LBB19_1426:
	s_andn2_b64 vcc, exec, s[0:1]
	s_cbranch_vccnz .LBB19_1428
; %bb.1427:
	global_load_sshort v1, v[10:11], off
	s_waitcnt vmcnt(0)
	v_cvt_f32_i32_e32 v1, v1
.LBB19_1428:
	s_mov_b64 s[0:1], 0
.LBB19_1429:
	s_andn2_b64 vcc, exec, s[0:1]
	s_cbranch_vccnz .LBB19_1435
; %bb.1430:
	s_cmp_gt_i32 s4, 0
	s_cbranch_scc0 .LBB19_1432
; %bb.1431:
	global_load_sbyte v1, v[10:11], off
	s_mov_b64 s[0:1], 0
	s_waitcnt vmcnt(0)
	v_cvt_f32_i32_e32 v1, v1
	s_branch .LBB19_1433
.LBB19_1432:
	s_mov_b64 s[0:1], -1
                                        ; implicit-def: $vgpr1
.LBB19_1433:
	s_andn2_b64 vcc, exec, s[0:1]
	s_cbranch_vccnz .LBB19_1435
; %bb.1434:
	global_load_ubyte v1, v[10:11], off
	s_waitcnt vmcnt(0)
	v_cvt_f32_ubyte0_e32 v1, v1
.LBB19_1435:
.LBB19_1436:
	s_waitcnt vmcnt(0)
	v_cmp_neq_f32_e32 vcc, 0, v1
	v_mov_b32_e32 v3, 0x7f800000
	s_and_saveexec_b64 s[4:5], vcc
	s_cbranch_execz .LBB19_1444
; %bb.1437:
	v_cmp_ngt_f32_e32 vcc, 0, v1
	v_mov_b32_e32 v3, 0x7fc00000
	s_and_saveexec_b64 s[6:7], vcc
	s_cbranch_execz .LBB19_1443
; %bb.1438:
	v_cmp_ge_f32_e32 vcc, 2.0, v1
                                        ; implicit-def: $vgpr3
	s_and_saveexec_b64 s[0:1], vcc
	s_xor_b64 s[12:13], exec, s[0:1]
	s_cbranch_execz .LBB19_1440
; %bb.1439:
	v_fma_f32 v3, v1, v1, -2.0
	v_mov_b32_e32 v8, 0x293fd856
	v_fmac_f32_e32 v8, 0x251e770f, v3
	v_mov_b32_e32 v10, 0xa51e770f
	v_fmac_f32_e32 v10, v3, v8
	v_add_f32_e32 v10, 0x2d3612e2, v10
	v_fma_f32 v8, v3, v10, -v8
	v_add_f32_e32 v8, 0x3102e09b, v8
	v_fma_f32 v10, v3, v8, -v10
	;; [unrolled: 2-line block ×7, first 2 shown]
	v_mul_f32_e32 v10, 0.5, v1
	s_mov_b32 s0, 0x800000
	v_cmp_gt_f32_e32 vcc, s0, v10
	v_cndmask_b32_e64 v11, 0, 32, vcc
	v_ldexp_f32 v10, v10, v11
	v_log_f32_e32 v10, v10
	v_add_f32_e32 v3, 0xbf090b37, v3
	v_sub_f32_e32 v3, v3, v8
	s_mov_b32 s0, 0x3f317217
	v_mul_f32_e32 v8, 0x3f317217, v10
	v_fma_f32 v8, v10, s0, -v8
	v_fmac_f32_e32 v8, 0x3377d1cf, v10
	s_mov_b32 s0, 0x7f800000
	v_fmac_f32_e32 v8, 0x3f317217, v10
	v_cmp_lt_f32_e64 s[0:1], |v10|, s0
	v_cndmask_b32_e64 v8, v10, v8, s[0:1]
	v_mul_f32_e32 v10, 0x3fb8aa3b, v1
	s_mov_b32 s0, 0x3fb8aa3b
	v_rndne_f32_e32 v11, v10
	v_sub_f32_e32 v12, v10, v11
	v_fma_f32 v10, v1, s0, -v10
	v_fmac_f32_e32 v10, 0x32a5705f, v1
	v_add_f32_e32 v10, v12, v10
	v_exp_f32_e32 v10, v10
	v_cvt_i32_f32_e32 v11, v11
	v_mov_b32_e32 v12, 0x41b17218
	s_mov_b32 s0, 0xc2ce8ed0
	v_cndmask_b32_e32 v12, 0, v12, vcc
	v_ldexp_f32 v10, v10, v11
	v_cmp_ngt_f32_e32 vcc, s0, v1
	s_mov_b32 s0, 0x42b17218
	v_cndmask_b32_e32 v10, 0, v10, vcc
	v_mov_b32_e32 v11, 0x7f800000
	v_cmp_nlt_f32_e32 vcc, s0, v1
	v_cndmask_b32_e32 v10, v11, v10, vcc
	v_fma_f32 v1, v1, 0.5, -2.0
	v_mov_b32_e32 v11, 0x24199b15
	v_sub_f32_e32 v8, v8, v12
	v_fmac_f32_e32 v11, 0xa2a2e5b9, v1
	v_mov_b32_e32 v12, 0x22a2e5b9
	v_fmac_f32_e32 v12, v1, v11
	v_add_f32_e32 v12, 0xa58c275c, v12
	v_fma_f32 v11, v1, v12, -v11
	v_add_f32_e32 v11, 0x26f736c5, v11
	v_fma_f32 v12, v1, v11, -v12
	;; [unrolled: 2-line block ×27, first 2 shown]
	v_add_f32_e32 v1, 0x3f2d4275, v1
	v_sub_f32_e32 v1, v1, v11
	v_mul_f32_e32 v1, 0.5, v1
	v_mul_f32_e32 v1, v10, v1
	v_mul_f32_e32 v1, v8, v1
	v_fma_f32 v1, v3, 0.5, -v1
	v_mul_f32_e32 v3, v10, v1
                                        ; implicit-def: $vgpr1
.LBB19_1440:
	s_andn2_saveexec_b64 s[12:13], s[12:13]
	s_cbranch_execz .LBB19_1442
; %bb.1441:
	s_mov_b32 s14, 0x41000000
	v_div_scale_f32 v3, s[0:1], v1, v1, s14
	v_div_scale_f32 v8, vcc, s14, v1, s14
	s_mov_b32 s0, 0xf800000
	v_mul_f32_e32 v10, 0x4f800000, v1
	v_cmp_gt_f32_e64 s[0:1], s0, v1
	v_cndmask_b32_e64 v10, v1, v10, s[0:1]
	v_sqrt_f32_e32 v12, v10
	v_add_u32_e32 v15, 1, v12
	v_fma_f32 v17, -v15, v12, v10
	v_rcp_f32_e32 v11, v3
	v_fma_f32 v13, -v3, v11, 1.0
	v_fmac_f32_e32 v11, v13, v11
	v_mul_f32_e32 v13, v8, v11
	v_fma_f32 v14, -v3, v13, v8
	v_fmac_f32_e32 v13, v14, v11
	v_fma_f32 v3, -v3, v13, v8
	v_div_fmas_f32 v3, v3, v11, v13
	v_mov_b32_e32 v8, 0xa397f665
	v_mov_b32_e32 v11, 0xa2c38d2e
	v_add_u32_e32 v14, -1, v12
	v_fma_f32 v16, -v14, v12, v10
	v_cmp_ge_f32_e32 vcc, 0, v16
	v_cndmask_b32_e32 v12, v12, v14, vcc
	v_cmp_lt_f32_e32 vcc, 0, v17
	v_cndmask_b32_e32 v12, v12, v15, vcc
	v_mov_b32_e32 v13, 0x260
	v_mul_f32_e32 v14, 0x37800000, v12
	v_cndmask_b32_e64 v12, v12, v14, s[0:1]
	v_cmp_class_f32_e32 vcc, v10, v13
	v_cndmask_b32_e32 v10, v12, v10, vcc
	v_div_fixup_f32 v1, v3, v1, s14
	v_add_f32_e32 v1, -2.0, v1
	v_fmac_f32_e32 v8, 0x22c38d2e, v1
	v_fmac_f32_e32 v11, v1, v8
	v_add_f32_e32 v3, 0x24704972, v11
	v_fma_f32 v8, v1, v3, -v8
	v_add_f32_e32 v8, 0xa5417ca4, v8
	v_fma_f32 v3, v1, v8, -v3
	;; [unrolled: 2-line block ×22, first 2 shown]
	v_add_f32_e32 v1, 0x401c2ded, v1
	v_sub_f32_e32 v1, v1, v3
	v_mul_f32_e32 v1, 0.5, v1
	v_div_scale_f32 v3, s[0:1], v10, v10, v1
	v_div_scale_f32 v8, vcc, v1, v10, v1
	v_rcp_f32_e32 v11, v3
	v_fma_f32 v12, -v3, v11, 1.0
	v_fmac_f32_e32 v11, v12, v11
	v_mul_f32_e32 v12, v8, v11
	v_fma_f32 v13, -v3, v12, v8
	v_fmac_f32_e32 v12, v13, v11
	v_fma_f32 v3, -v3, v12, v8
	v_div_fmas_f32 v3, v3, v11, v12
	v_div_fixup_f32 v3, v3, v10, v1
.LBB19_1442:
	s_or_b64 exec, exec, s[12:13]
.LBB19_1443:
	s_or_b64 exec, exec, s[6:7]
.LBB19_1444:
	s_or_b64 exec, exec, s[4:5]
	v_mov_b32_e32 v1, s11
	v_add_co_u32_e32 v8, vcc, s10, v9
	s_cmp_lt_i32 s17, 11
	v_addc_co_u32_e32 v9, vcc, 0, v1, vcc
	s_cbranch_scc1 .LBB19_1451
; %bb.1445:
	s_and_b32 s18, 0xffff, s17
	s_cmp_gt_i32 s18, 25
	s_mov_b64 s[4:5], 0
	s_cbranch_scc0 .LBB19_1453
; %bb.1446:
	s_cmp_gt_i32 s18, 28
	s_cbranch_scc0 .LBB19_1454
; %bb.1447:
	s_cmp_gt_i32 s18, 43
	;; [unrolled: 3-line block ×3, first 2 shown]
	s_cbranch_scc0 .LBB19_1457
; %bb.1449:
	s_cmp_eq_u32 s18, 46
	s_mov_b64 s[12:13], 0
	s_cbranch_scc0 .LBB19_1458
; %bb.1450:
	global_load_dword v1, v[8:9], off
	s_mov_b64 s[0:1], 0
	s_mov_b64 s[6:7], -1
	s_waitcnt vmcnt(0)
	v_lshlrev_b32_e32 v10, 16, v1
	s_branch .LBB19_1459
.LBB19_1451:
	s_mov_b64 s[6:7], 0
                                        ; implicit-def: $vgpr10
	s_cbranch_execnz .LBB19_1525
.LBB19_1452:
	s_andn2_b64 vcc, exec, s[6:7]
	s_cbranch_vccnz .LBB19_1797
	s_branch .LBB19_1573
.LBB19_1453:
	s_mov_b64 s[12:13], -1
	s_mov_b64 s[6:7], 0
	s_mov_b64 s[0:1], 0
                                        ; implicit-def: $vgpr10
	s_branch .LBB19_1488
.LBB19_1454:
	s_mov_b64 s[12:13], -1
	s_mov_b64 s[6:7], 0
	s_mov_b64 s[0:1], 0
                                        ; implicit-def: $vgpr10
	s_branch .LBB19_1469
.LBB19_1455:
	s_mov_b64 s[12:13], -1
	s_mov_b64 s[6:7], 0
	s_mov_b64 s[0:1], 0
                                        ; implicit-def: $vgpr10
	s_branch .LBB19_1464
.LBB19_1456:
	s_trap 2
	s_or_b64 s[2:3], s[2:3], exec
	s_cbranch_execz .LBB19_1387
	s_branch .LBB19_1388
.LBB19_1457:
	s_mov_b64 s[12:13], -1
	s_mov_b64 s[6:7], 0
	s_mov_b64 s[0:1], 0
                                        ; implicit-def: $vgpr10
	s_branch .LBB19_1459
.LBB19_1458:
	s_mov_b64 s[0:1], -1
                                        ; implicit-def: $vgpr10
	s_mov_b64 s[6:7], 0
.LBB19_1459:
	s_and_b64 vcc, exec, s[12:13]
	s_cbranch_vccz .LBB19_1463
; %bb.1460:
	s_cmp_eq_u32 s18, 44
	s_cbranch_scc0 .LBB19_1462
; %bb.1461:
	global_load_ubyte v1, v[8:9], off
	s_movk_i32 s6, 0xff
	v_mov_b32_e32 v10, 0x7f800001
	v_mov_b32_e32 v11, 0x400000
	s_mov_b64 s[0:1], 0
	s_waitcnt vmcnt(0)
	v_lshlrev_b32_e32 v12, 23, v1
	v_cmp_ne_u32_e32 vcc, s6, v1
	v_cndmask_b32_e32 v10, v10, v12, vcc
	v_cmp_ne_u32_e32 vcc, 0, v1
	v_cndmask_b32_e32 v10, v11, v10, vcc
	s_mov_b64 s[6:7], -1
	s_branch .LBB19_1463
.LBB19_1462:
	s_mov_b64 s[0:1], -1
                                        ; implicit-def: $vgpr10
.LBB19_1463:
	s_mov_b64 s[12:13], 0
.LBB19_1464:
	s_and_b64 vcc, exec, s[12:13]
	s_cbranch_vccz .LBB19_1468
; %bb.1465:
	s_cmp_eq_u32 s18, 29
	s_cbranch_scc0 .LBB19_1467
; %bb.1466:
	global_load_dwordx2 v[10:11], v[8:9], off
	s_mov_b64 s[0:1], 0
	s_mov_b64 s[6:7], -1
	s_mov_b64 s[12:13], 0
	s_waitcnt vmcnt(0)
	v_ffbh_u32_e32 v1, v11
	v_min_u32_e32 v1, 32, v1
	v_lshlrev_b64 v[10:11], v1, v[10:11]
	v_sub_u32_e32 v1, 32, v1
	v_min_u32_e32 v10, 1, v10
	v_or_b32_e32 v10, v11, v10
	v_cvt_f32_u32_e32 v10, v10
	v_ldexp_f32 v10, v10, v1
	s_branch .LBB19_1469
.LBB19_1467:
	s_mov_b64 s[0:1], -1
                                        ; implicit-def: $vgpr10
.LBB19_1468:
	s_mov_b64 s[12:13], 0
.LBB19_1469:
	s_and_b64 vcc, exec, s[12:13]
	s_cbranch_vccz .LBB19_1487
; %bb.1470:
	s_cmp_lt_i32 s18, 27
	s_cbranch_scc1 .LBB19_1473
; %bb.1471:
	s_cmp_gt_i32 s18, 27
	s_cbranch_scc0 .LBB19_1474
; %bb.1472:
	global_load_dword v1, v[8:9], off
	s_mov_b64 s[6:7], 0
	s_waitcnt vmcnt(0)
	v_cvt_f32_u32_e32 v10, v1
	s_branch .LBB19_1475
.LBB19_1473:
	s_mov_b64 s[6:7], -1
                                        ; implicit-def: $vgpr10
	s_branch .LBB19_1478
.LBB19_1474:
	s_mov_b64 s[6:7], -1
                                        ; implicit-def: $vgpr10
.LBB19_1475:
	s_andn2_b64 vcc, exec, s[6:7]
	s_cbranch_vccnz .LBB19_1477
; %bb.1476:
	global_load_ushort v1, v[8:9], off
	s_waitcnt vmcnt(0)
	v_cvt_f32_u32_e32 v10, v1
.LBB19_1477:
	s_mov_b64 s[6:7], 0
.LBB19_1478:
	s_andn2_b64 vcc, exec, s[6:7]
	s_cbranch_vccnz .LBB19_1486
; %bb.1479:
	global_load_ubyte v1, v[8:9], off
	s_movk_i32 s6, 0x7f
	s_waitcnt vmcnt(0)
	v_cmp_lt_i16_e32 vcc, s6, v1
	s_mov_b64 s[6:7], 0
	s_and_saveexec_b64 s[12:13], vcc
	s_xor_b64 s[12:13], exec, s[12:13]
	s_cbranch_execz .LBB19_1500
; %bb.1480:
	s_movk_i32 s6, 0x80
	v_cmp_eq_u16_e32 vcc, s6, v1
	s_mov_b64 s[6:7], -1
	s_and_saveexec_b64 s[14:15], vcc
; %bb.1481:
	s_xor_b64 s[6:7], exec, -1
; %bb.1482:
	s_or_b64 exec, exec, s[14:15]
	s_and_b64 s[6:7], s[6:7], exec
	s_or_saveexec_b64 s[12:13], s[12:13]
	v_mov_b32_e32 v10, 0x7f800001
	s_xor_b64 exec, exec, s[12:13]
	s_cbranch_execnz .LBB19_1501
.LBB19_1483:
	s_or_b64 exec, exec, s[12:13]
	s_and_saveexec_b64 s[12:13], s[6:7]
	s_cbranch_execz .LBB19_1485
.LBB19_1484:
	v_lshlrev_b32_e32 v10, 24, v1
	v_and_b32_e32 v1, 0xffff, v1
	v_and_b32_e32 v11, 7, v1
	v_ffbh_u32_e32 v13, v11
	v_min_u32_e32 v13, 32, v13
	v_subrev_u32_e32 v14, 28, v13
	v_bfe_u32 v12, v1, 3, 4
	v_lshlrev_b32_e32 v1, v14, v1
	v_sub_u32_e32 v13, 29, v13
	v_and_b32_e32 v1, 7, v1
	v_cmp_eq_u32_e32 vcc, 0, v12
	v_cndmask_b32_e32 v12, v12, v13, vcc
	v_cndmask_b32_e32 v1, v11, v1, vcc
	v_mov_b32_e32 v11, 0x3b800000
	v_lshlrev_b32_e32 v1, 20, v1
	v_and_b32_e32 v10, 0x80000000, v10
	v_lshl_add_u32 v11, v12, 23, v11
	v_or3_b32 v10, v10, v11, v1
.LBB19_1485:
	s_or_b64 exec, exec, s[12:13]
.LBB19_1486:
	s_mov_b64 s[6:7], -1
.LBB19_1487:
	s_mov_b64 s[12:13], 0
.LBB19_1488:
	s_and_b64 vcc, exec, s[12:13]
	s_cbranch_vccz .LBB19_1521
; %bb.1489:
	s_cmp_gt_i32 s18, 22
	s_cbranch_scc0 .LBB19_1499
; %bb.1490:
	s_cmp_lt_i32 s18, 24
	s_cbranch_scc1 .LBB19_1502
; %bb.1491:
	s_cmp_gt_i32 s18, 24
	s_cbranch_scc0 .LBB19_1503
; %bb.1492:
	global_load_ubyte v1, v[8:9], off
	s_movk_i32 s4, 0x7f
	s_waitcnt vmcnt(0)
	v_cmp_lt_i16_e32 vcc, s4, v1
	s_mov_b64 s[4:5], 0
	s_and_saveexec_b64 s[6:7], vcc
	s_xor_b64 s[6:7], exec, s[6:7]
	s_cbranch_execz .LBB19_1515
; %bb.1493:
	s_movk_i32 s4, 0x80
	v_cmp_eq_u16_e32 vcc, s4, v1
	s_mov_b64 s[4:5], -1
	s_and_saveexec_b64 s[12:13], vcc
; %bb.1494:
	s_xor_b64 s[4:5], exec, -1
; %bb.1495:
	s_or_b64 exec, exec, s[12:13]
	s_and_b64 s[4:5], s[4:5], exec
	s_or_saveexec_b64 s[6:7], s[6:7]
	v_mov_b32_e32 v10, 0x7f800001
	s_xor_b64 exec, exec, s[6:7]
	s_cbranch_execnz .LBB19_1516
.LBB19_1496:
	s_or_b64 exec, exec, s[6:7]
	s_and_saveexec_b64 s[6:7], s[4:5]
	s_cbranch_execz .LBB19_1498
.LBB19_1497:
	v_lshlrev_b32_e32 v10, 24, v1
	v_and_b32_e32 v1, 0xffff, v1
	v_and_b32_e32 v11, 3, v1
	v_ffbh_u32_e32 v13, v11
	v_min_u32_e32 v13, 32, v13
	v_subrev_u32_e32 v14, 29, v13
	v_bfe_u32 v12, v1, 2, 5
	v_lshlrev_b32_e32 v1, v14, v1
	v_sub_u32_e32 v13, 30, v13
	v_and_b32_e32 v1, 3, v1
	v_cmp_eq_u32_e32 vcc, 0, v12
	v_cndmask_b32_e32 v12, v12, v13, vcc
	v_cndmask_b32_e32 v1, v11, v1, vcc
	v_mov_b32_e32 v11, 0x37800000
	v_lshlrev_b32_e32 v1, 21, v1
	v_and_b32_e32 v10, 0x80000000, v10
	v_lshl_add_u32 v11, v12, 23, v11
	v_or3_b32 v10, v10, v11, v1
.LBB19_1498:
	s_or_b64 exec, exec, s[6:7]
	s_mov_b64 s[4:5], 0
	s_branch .LBB19_1504
.LBB19_1499:
	s_mov_b64 s[4:5], -1
                                        ; implicit-def: $vgpr10
	s_branch .LBB19_1510
.LBB19_1500:
	s_or_saveexec_b64 s[12:13], s[12:13]
	v_mov_b32_e32 v10, 0x7f800001
	s_xor_b64 exec, exec, s[12:13]
	s_cbranch_execz .LBB19_1483
.LBB19_1501:
	v_cmp_ne_u16_e32 vcc, 0, v1
	s_andn2_b64 s[6:7], s[6:7], exec
	s_and_b64 s[14:15], vcc, exec
	v_mov_b32_e32 v10, 0
	s_or_b64 s[6:7], s[6:7], s[14:15]
	s_or_b64 exec, exec, s[12:13]
	s_and_saveexec_b64 s[12:13], s[6:7]
	s_cbranch_execnz .LBB19_1484
	s_branch .LBB19_1485
.LBB19_1502:
	s_mov_b64 s[4:5], -1
                                        ; implicit-def: $vgpr10
	s_branch .LBB19_1507
.LBB19_1503:
	s_mov_b64 s[4:5], -1
                                        ; implicit-def: $vgpr10
.LBB19_1504:
	s_and_b64 vcc, exec, s[4:5]
	s_cbranch_vccz .LBB19_1506
; %bb.1505:
	global_load_ubyte v1, v[8:9], off
	s_mov_b32 s4, 0x7f800000
	s_waitcnt vmcnt(0)
	v_lshlrev_b32_e32 v1, 24, v1
	v_and_b32_e32 v10, 0x7f000000, v1
	v_ffbh_u32_e32 v11, v10
	v_min_u32_e32 v11, 32, v11
	v_sub_u32_e64 v11, v11, 4 clamp
	v_lshlrev_b32_e32 v13, v11, v10
	v_lshlrev_b32_e32 v11, 23, v11
	v_lshrrev_b32_e32 v13, 4, v13
	v_add_u32_e32 v12, 0x1000000, v10
	v_sub_u32_e32 v11, v13, v11
	v_ashrrev_i32_e32 v12, 8, v12
	v_add_u32_e32 v11, 0x3c000000, v11
	v_and_or_b32 v11, v12, s4, v11
	v_cmp_ne_u32_e32 vcc, 0, v10
	v_cndmask_b32_e32 v10, 0, v11, vcc
	s_brev_b32 s4, 1
	v_and_or_b32 v10, v1, s4, v10
.LBB19_1506:
	s_mov_b64 s[4:5], 0
.LBB19_1507:
	s_andn2_b64 vcc, exec, s[4:5]
	s_cbranch_vccnz .LBB19_1509
; %bb.1508:
	global_load_ubyte v1, v[8:9], off
	s_movk_i32 s4, 0x7f00
	s_brev_b32 s5, 16
	s_waitcnt vmcnt(0)
	v_lshlrev_b16_e32 v10, 8, v1
	v_lshlrev_b32_e32 v1, 25, v1
	v_lshrrev_b32_e32 v11, 4, v1
	v_and_or_b32 v12, v10, s4, 0.5
	v_or_b32_e32 v11, 0x70000000, v11
	v_add_f32_e32 v12, -0.5, v12
	v_mul_f32_e32 v11, 0x7800000, v11
	v_cmp_gt_u32_e32 vcc, s5, v1
	v_bfe_i32 v10, v10, 0, 16
	v_cndmask_b32_e32 v1, v11, v12, vcc
	s_brev_b32 s4, 1
	v_and_or_b32 v10, v10, s4, v1
.LBB19_1509:
	s_mov_b64 s[4:5], 0
	s_mov_b64 s[6:7], -1
.LBB19_1510:
	s_andn2_b64 vcc, exec, s[4:5]
	s_mov_b64 s[4:5], 0
	s_cbranch_vccnz .LBB19_1521
; %bb.1511:
	s_cmp_gt_i32 s18, 14
	s_cbranch_scc0 .LBB19_1514
; %bb.1512:
	s_cmp_eq_u32 s18, 15
	s_cbranch_scc0 .LBB19_1517
; %bb.1513:
	global_load_ushort v1, v[8:9], off
	s_mov_b64 s[0:1], 0
	s_mov_b64 s[6:7], -1
	s_waitcnt vmcnt(0)
	v_lshlrev_b32_e32 v10, 16, v1
	s_branch .LBB19_1518
.LBB19_1514:
	s_mov_b64 s[12:13], -1
                                        ; implicit-def: $vgpr10
	s_branch .LBB19_1519
.LBB19_1515:
	s_or_saveexec_b64 s[6:7], s[6:7]
	v_mov_b32_e32 v10, 0x7f800001
	s_xor_b64 exec, exec, s[6:7]
	s_cbranch_execz .LBB19_1496
.LBB19_1516:
	v_cmp_ne_u16_e32 vcc, 0, v1
	s_andn2_b64 s[4:5], s[4:5], exec
	s_and_b64 s[12:13], vcc, exec
	v_mov_b32_e32 v10, 0
	s_or_b64 s[4:5], s[4:5], s[12:13]
	s_or_b64 exec, exec, s[6:7]
	s_and_saveexec_b64 s[6:7], s[4:5]
	s_cbranch_execnz .LBB19_1497
	s_branch .LBB19_1498
.LBB19_1517:
	s_mov_b64 s[0:1], -1
                                        ; implicit-def: $vgpr10
.LBB19_1518:
	s_mov_b64 s[12:13], 0
.LBB19_1519:
	s_and_b64 vcc, exec, s[12:13]
	s_cbranch_vccz .LBB19_1521
; %bb.1520:
	s_cmp_lg_u32 s18, 11
	s_mov_b64 s[4:5], -1
	s_cselect_b64 s[0:1], -1, 0
.LBB19_1521:
	s_and_b64 vcc, exec, s[0:1]
	s_cbranch_vccnz .LBB19_1592
; %bb.1522:
	s_andn2_b64 vcc, exec, s[4:5]
	s_cbranch_vccnz .LBB19_1524
.LBB19_1523:
	global_load_ubyte v1, v[8:9], off
	s_mov_b64 s[6:7], -1
	s_waitcnt vmcnt(0)
	v_cmp_ne_u16_e32 vcc, 0, v1
	v_cndmask_b32_e64 v10, 0, 1.0, vcc
.LBB19_1524:
	s_branch .LBB19_1452
.LBB19_1525:
	s_and_b32 s4, 0xffff, s17
	s_cmp_lt_i32 s4, 5
	s_cbranch_scc1 .LBB19_1530
; %bb.1526:
	s_cmp_lt_i32 s4, 8
	s_cbranch_scc1 .LBB19_1531
; %bb.1527:
	;; [unrolled: 3-line block ×3, first 2 shown]
	s_cmp_gt_i32 s4, 9
	s_cbranch_scc0 .LBB19_1533
; %bb.1529:
	global_load_dwordx2 v[10:11], v[8:9], off
	s_mov_b64 s[0:1], 0
	s_waitcnt vmcnt(0)
	v_cvt_f32_f64_e32 v10, v[10:11]
	s_branch .LBB19_1534
.LBB19_1530:
	s_mov_b64 s[0:1], -1
                                        ; implicit-def: $vgpr10
	s_branch .LBB19_1552
.LBB19_1531:
	s_mov_b64 s[0:1], -1
                                        ; implicit-def: $vgpr10
	s_branch .LBB19_1540
.LBB19_1532:
	s_mov_b64 s[0:1], -1
                                        ; implicit-def: $vgpr10
	s_branch .LBB19_1537
.LBB19_1533:
	s_mov_b64 s[0:1], -1
                                        ; implicit-def: $vgpr10
.LBB19_1534:
	s_andn2_b64 vcc, exec, s[0:1]
	s_cbranch_vccnz .LBB19_1536
; %bb.1535:
	global_load_dword v10, v[8:9], off
.LBB19_1536:
	s_mov_b64 s[0:1], 0
.LBB19_1537:
	s_andn2_b64 vcc, exec, s[0:1]
	s_cbranch_vccnz .LBB19_1539
; %bb.1538:
	global_load_dword v1, v[8:9], off
	s_waitcnt vmcnt(0)
	v_cvt_f32_f16_e32 v10, v1
.LBB19_1539:
	s_mov_b64 s[0:1], 0
.LBB19_1540:
	s_andn2_b64 vcc, exec, s[0:1]
	s_cbranch_vccnz .LBB19_1551
; %bb.1541:
	s_cmp_lt_i32 s4, 6
	s_cbranch_scc1 .LBB19_1544
; %bb.1542:
	s_cmp_gt_i32 s4, 6
	s_cbranch_scc0 .LBB19_1545
; %bb.1543:
	global_load_dwordx2 v[10:11], v[8:9], off
	s_mov_b64 s[0:1], 0
	s_waitcnt vmcnt(0)
	v_cvt_f32_f64_e32 v10, v[10:11]
	s_branch .LBB19_1546
.LBB19_1544:
	s_mov_b64 s[0:1], -1
                                        ; implicit-def: $vgpr10
	s_branch .LBB19_1549
.LBB19_1545:
	s_mov_b64 s[0:1], -1
                                        ; implicit-def: $vgpr10
.LBB19_1546:
	s_andn2_b64 vcc, exec, s[0:1]
	s_cbranch_vccnz .LBB19_1548
; %bb.1547:
	global_load_dword v10, v[8:9], off
.LBB19_1548:
	s_mov_b64 s[0:1], 0
.LBB19_1549:
	s_andn2_b64 vcc, exec, s[0:1]
	s_cbranch_vccnz .LBB19_1551
; %bb.1550:
	global_load_ushort v1, v[8:9], off
	s_waitcnt vmcnt(0)
	v_cvt_f32_f16_e32 v10, v1
.LBB19_1551:
	s_mov_b64 s[0:1], 0
.LBB19_1552:
	s_andn2_b64 vcc, exec, s[0:1]
	s_cbranch_vccnz .LBB19_1572
; %bb.1553:
	s_cmp_lt_i32 s4, 2
	s_cbranch_scc1 .LBB19_1557
; %bb.1554:
	s_cmp_lt_i32 s4, 3
	s_cbranch_scc1 .LBB19_1558
; %bb.1555:
	s_cmp_gt_i32 s4, 3
	s_cbranch_scc0 .LBB19_1559
; %bb.1556:
	global_load_dwordx2 v[10:11], v[8:9], off
	s_mov_b64 s[0:1], 0
	s_waitcnt vmcnt(0)
	v_xor_b32_e32 v12, v10, v11
	v_ffbh_i32_e32 v1, v11
	v_ashrrev_i32_e32 v12, 31, v12
	v_add_u32_e32 v1, -1, v1
	v_add_u32_e32 v12, 32, v12
	v_min_u32_e32 v1, v1, v12
	v_lshlrev_b64 v[10:11], v1, v[10:11]
	v_sub_u32_e32 v1, 32, v1
	v_min_u32_e32 v10, 1, v10
	v_or_b32_e32 v10, v11, v10
	v_cvt_f32_i32_e32 v10, v10
	v_ldexp_f32 v10, v10, v1
	s_branch .LBB19_1560
.LBB19_1557:
	s_mov_b64 s[0:1], -1
                                        ; implicit-def: $vgpr10
	s_branch .LBB19_1566
.LBB19_1558:
	s_mov_b64 s[0:1], -1
                                        ; implicit-def: $vgpr10
	s_branch .LBB19_1563
.LBB19_1559:
	s_mov_b64 s[0:1], -1
                                        ; implicit-def: $vgpr10
.LBB19_1560:
	s_andn2_b64 vcc, exec, s[0:1]
	s_cbranch_vccnz .LBB19_1562
; %bb.1561:
	global_load_dword v1, v[8:9], off
	s_waitcnt vmcnt(0)
	v_cvt_f32_i32_e32 v10, v1
.LBB19_1562:
	s_mov_b64 s[0:1], 0
.LBB19_1563:
	s_andn2_b64 vcc, exec, s[0:1]
	s_cbranch_vccnz .LBB19_1565
; %bb.1564:
	global_load_sshort v1, v[8:9], off
	s_waitcnt vmcnt(0)
	v_cvt_f32_i32_e32 v10, v1
.LBB19_1565:
	s_mov_b64 s[0:1], 0
.LBB19_1566:
	s_andn2_b64 vcc, exec, s[0:1]
	s_cbranch_vccnz .LBB19_1572
; %bb.1567:
	s_cmp_gt_i32 s4, 0
	s_cbranch_scc0 .LBB19_1569
; %bb.1568:
	global_load_sbyte v1, v[8:9], off
	s_mov_b64 s[0:1], 0
	s_waitcnt vmcnt(0)
	v_cvt_f32_i32_e32 v10, v1
	s_branch .LBB19_1570
.LBB19_1569:
	s_mov_b64 s[0:1], -1
                                        ; implicit-def: $vgpr10
.LBB19_1570:
	s_andn2_b64 vcc, exec, s[0:1]
	s_cbranch_vccnz .LBB19_1572
; %bb.1571:
	global_load_ubyte v1, v[8:9], off
	s_waitcnt vmcnt(0)
	v_cvt_f32_ubyte0_e32 v10, v1
.LBB19_1572:
.LBB19_1573:
	s_waitcnt vmcnt(0)
	v_cmp_neq_f32_e32 vcc, 0, v10
	v_mov_b32_e32 v1, 0x7f800000
	s_and_saveexec_b64 s[4:5], vcc
	s_cbranch_execz .LBB19_1581
; %bb.1574:
	v_cmp_ngt_f32_e32 vcc, 0, v10
	v_mov_b32_e32 v1, 0x7fc00000
	s_and_saveexec_b64 s[6:7], vcc
	s_cbranch_execz .LBB19_1580
; %bb.1575:
	v_cmp_ge_f32_e32 vcc, 2.0, v10
                                        ; implicit-def: $vgpr1
	s_and_saveexec_b64 s[0:1], vcc
	s_xor_b64 s[12:13], exec, s[0:1]
	s_cbranch_execz .LBB19_1577
; %bb.1576:
	v_fma_f32 v1, v10, v10, -2.0
	v_mov_b32_e32 v8, 0x293fd856
	v_fmac_f32_e32 v8, 0x251e770f, v1
	v_mov_b32_e32 v9, 0xa51e770f
	v_fmac_f32_e32 v9, v1, v8
	v_add_f32_e32 v9, 0x2d3612e2, v9
	v_fma_f32 v8, v1, v9, -v8
	v_add_f32_e32 v8, 0x3102e09b, v8
	v_fma_f32 v9, v1, v8, -v9
	;; [unrolled: 2-line block ×7, first 2 shown]
	v_mul_f32_e32 v9, 0.5, v10
	s_mov_b32 s0, 0x800000
	v_cmp_gt_f32_e32 vcc, s0, v9
	v_cndmask_b32_e64 v11, 0, 32, vcc
	v_ldexp_f32 v9, v9, v11
	v_log_f32_e32 v9, v9
	v_add_f32_e32 v1, 0xbf090b37, v1
	v_sub_f32_e32 v1, v1, v8
	s_mov_b32 s0, 0x3f317217
	v_mul_f32_e32 v8, 0x3f317217, v9
	v_fma_f32 v8, v9, s0, -v8
	v_fmac_f32_e32 v8, 0x3377d1cf, v9
	s_mov_b32 s0, 0x7f800000
	v_fmac_f32_e32 v8, 0x3f317217, v9
	v_cmp_lt_f32_e64 s[0:1], |v9|, s0
	v_cndmask_b32_e64 v8, v9, v8, s[0:1]
	v_mul_f32_e32 v9, 0x3fb8aa3b, v10
	s_mov_b32 s0, 0x3fb8aa3b
	v_rndne_f32_e32 v11, v9
	v_sub_f32_e32 v12, v9, v11
	v_fma_f32 v9, v10, s0, -v9
	v_fmac_f32_e32 v9, 0x32a5705f, v10
	v_add_f32_e32 v9, v12, v9
	v_exp_f32_e32 v9, v9
	v_cvt_i32_f32_e32 v11, v11
	v_mov_b32_e32 v12, 0x41b17218
	s_mov_b32 s0, 0xc2ce8ed0
	v_cndmask_b32_e32 v12, 0, v12, vcc
	v_ldexp_f32 v9, v9, v11
	v_cmp_ngt_f32_e32 vcc, s0, v10
	s_mov_b32 s0, 0x42b17218
	v_cndmask_b32_e32 v9, 0, v9, vcc
	v_mov_b32_e32 v11, 0x7f800000
	v_cmp_nlt_f32_e32 vcc, s0, v10
	v_cndmask_b32_e32 v9, v11, v9, vcc
	v_fma_f32 v10, v10, 0.5, -2.0
	v_mov_b32_e32 v11, 0x24199b15
	v_sub_f32_e32 v8, v8, v12
	v_fmac_f32_e32 v11, 0xa2a2e5b9, v10
	v_mov_b32_e32 v12, 0x22a2e5b9
	v_fmac_f32_e32 v12, v10, v11
	v_add_f32_e32 v12, 0xa58c275c, v12
	v_fma_f32 v11, v10, v12, -v11
	v_add_f32_e32 v11, 0x26f736c5, v11
	v_fma_f32 v12, v10, v11, -v12
	;; [unrolled: 2-line block ×27, first 2 shown]
	v_add_f32_e32 v10, 0x3f2d4275, v10
	v_sub_f32_e32 v10, v10, v11
	v_mul_f32_e32 v10, 0.5, v10
	v_mul_f32_e32 v10, v9, v10
	v_mul_f32_e32 v8, v8, v10
	v_fma_f32 v1, v1, 0.5, -v8
	v_mul_f32_e32 v1, v9, v1
                                        ; implicit-def: $vgpr10
.LBB19_1577:
	s_andn2_saveexec_b64 s[12:13], s[12:13]
	s_cbranch_execz .LBB19_1579
; %bb.1578:
	s_mov_b32 s14, 0x41000000
	v_div_scale_f32 v1, s[0:1], v10, v10, s14
	v_div_scale_f32 v8, vcc, s14, v10, s14
	s_mov_b32 s0, 0xf800000
	v_mul_f32_e32 v9, 0x4f800000, v10
	v_cmp_gt_f32_e64 s[0:1], s0, v10
	v_cndmask_b32_e64 v9, v10, v9, s[0:1]
	v_sqrt_f32_e32 v12, v9
	v_add_u32_e32 v15, 1, v12
	v_fma_f32 v17, -v15, v12, v9
	v_rcp_f32_e32 v11, v1
	v_fma_f32 v13, -v1, v11, 1.0
	v_fmac_f32_e32 v11, v13, v11
	v_mul_f32_e32 v13, v8, v11
	v_fma_f32 v14, -v1, v13, v8
	v_fmac_f32_e32 v13, v14, v11
	v_fma_f32 v1, -v1, v13, v8
	v_div_fmas_f32 v1, v1, v11, v13
	v_mov_b32_e32 v8, 0xa397f665
	v_mov_b32_e32 v11, 0xa2c38d2e
	v_add_u32_e32 v14, -1, v12
	v_fma_f32 v16, -v14, v12, v9
	v_cmp_ge_f32_e32 vcc, 0, v16
	v_cndmask_b32_e32 v12, v12, v14, vcc
	v_cmp_lt_f32_e32 vcc, 0, v17
	v_cndmask_b32_e32 v12, v12, v15, vcc
	v_mov_b32_e32 v13, 0x260
	v_mul_f32_e32 v14, 0x37800000, v12
	v_cndmask_b32_e64 v12, v12, v14, s[0:1]
	v_cmp_class_f32_e32 vcc, v9, v13
	v_cndmask_b32_e32 v9, v12, v9, vcc
	v_div_fixup_f32 v1, v1, v10, s14
	v_add_f32_e32 v1, -2.0, v1
	v_fmac_f32_e32 v8, 0x22c38d2e, v1
	v_fmac_f32_e32 v11, v1, v8
	v_add_f32_e32 v10, 0x24704972, v11
	v_fma_f32 v8, v1, v10, -v8
	v_add_f32_e32 v8, 0xa5417ca4, v8
	v_fma_f32 v10, v1, v8, -v10
	;; [unrolled: 2-line block ×22, first 2 shown]
	v_add_f32_e32 v1, 0x401c2ded, v1
	v_sub_f32_e32 v1, v1, v10
	v_mul_f32_e32 v1, 0.5, v1
	v_div_scale_f32 v8, s[0:1], v9, v9, v1
	v_div_scale_f32 v10, vcc, v1, v9, v1
	v_rcp_f32_e32 v11, v8
	v_fma_f32 v12, -v8, v11, 1.0
	v_fmac_f32_e32 v11, v12, v11
	v_mul_f32_e32 v12, v10, v11
	v_fma_f32 v13, -v8, v12, v10
	v_fmac_f32_e32 v12, v13, v11
	v_fma_f32 v8, -v8, v12, v10
	v_div_fmas_f32 v8, v8, v11, v12
	v_div_fixup_f32 v1, v8, v9, v1
.LBB19_1579:
	s_or_b64 exec, exec, s[12:13]
.LBB19_1580:
	s_or_b64 exec, exec, s[6:7]
.LBB19_1581:
	s_or_b64 exec, exec, s[4:5]
	v_mov_b32_e32 v8, s11
	v_add_co_u32_e32 v7, vcc, s10, v7
	s_cmp_lt_i32 s17, 11
	v_addc_co_u32_e32 v8, vcc, 0, v8, vcc
	s_cbranch_scc1 .LBB19_1588
; %bb.1582:
	s_and_b32 s14, 0xffff, s17
	s_cmp_gt_i32 s14, 25
	s_mov_b64 s[4:5], 0
	s_cbranch_scc0 .LBB19_1589
; %bb.1583:
	s_cmp_gt_i32 s14, 28
	s_cbranch_scc0 .LBB19_1590
; %bb.1584:
	s_cmp_gt_i32 s14, 43
	;; [unrolled: 3-line block ×3, first 2 shown]
	s_cbranch_scc0 .LBB19_1593
; %bb.1586:
	s_cmp_eq_u32 s14, 46
	s_mov_b64 s[10:11], 0
	s_cbranch_scc0 .LBB19_1594
; %bb.1587:
	global_load_dword v9, v[7:8], off
	s_mov_b64 s[0:1], 0
	s_mov_b64 s[6:7], -1
	s_waitcnt vmcnt(0)
	v_lshlrev_b32_e32 v9, 16, v9
	s_branch .LBB19_1595
.LBB19_1588:
	s_mov_b64 s[0:1], -1
	s_mov_b64 s[6:7], 0
                                        ; implicit-def: $vgpr9
	s_branch .LBB19_1661
.LBB19_1589:
	s_mov_b64 s[10:11], -1
	s_mov_b64 s[6:7], 0
	s_mov_b64 s[0:1], 0
                                        ; implicit-def: $vgpr9
	s_branch .LBB19_1624
.LBB19_1590:
	s_mov_b64 s[10:11], -1
	s_mov_b64 s[6:7], 0
	s_mov_b64 s[0:1], 0
                                        ; implicit-def: $vgpr9
	s_branch .LBB19_1605
.LBB19_1591:
	s_mov_b64 s[10:11], -1
	s_mov_b64 s[6:7], 0
	s_mov_b64 s[0:1], 0
                                        ; implicit-def: $vgpr9
	s_branch .LBB19_1600
.LBB19_1592:
	s_trap 2
	s_or_b64 s[2:3], s[2:3], exec
	s_cbranch_execz .LBB19_1523
	s_branch .LBB19_1524
.LBB19_1593:
	s_mov_b64 s[10:11], -1
	s_mov_b64 s[6:7], 0
	s_mov_b64 s[0:1], 0
                                        ; implicit-def: $vgpr9
	s_branch .LBB19_1595
.LBB19_1594:
	s_mov_b64 s[0:1], -1
                                        ; implicit-def: $vgpr9
	s_mov_b64 s[6:7], 0
.LBB19_1595:
	s_and_b64 vcc, exec, s[10:11]
	s_cbranch_vccz .LBB19_1599
; %bb.1596:
	s_cmp_eq_u32 s14, 44
	s_cbranch_scc0 .LBB19_1598
; %bb.1597:
	global_load_ubyte v9, v[7:8], off
	s_movk_i32 s6, 0xff
	v_mov_b32_e32 v10, 0x7f800001
	v_mov_b32_e32 v11, 0x400000
	s_mov_b64 s[0:1], 0
	s_waitcnt vmcnt(0)
	v_lshlrev_b32_e32 v12, 23, v9
	v_cmp_ne_u32_e32 vcc, s6, v9
	v_cndmask_b32_e32 v10, v10, v12, vcc
	v_cmp_ne_u32_e32 vcc, 0, v9
	v_cndmask_b32_e32 v9, v11, v10, vcc
	s_mov_b64 s[6:7], -1
	s_branch .LBB19_1599
.LBB19_1598:
	s_mov_b64 s[0:1], -1
                                        ; implicit-def: $vgpr9
.LBB19_1599:
	s_mov_b64 s[10:11], 0
.LBB19_1600:
	s_and_b64 vcc, exec, s[10:11]
	s_cbranch_vccz .LBB19_1604
; %bb.1601:
	s_cmp_eq_u32 s14, 29
	s_cbranch_scc0 .LBB19_1603
; %bb.1602:
	global_load_dwordx2 v[9:10], v[7:8], off
	s_mov_b64 s[0:1], 0
	s_mov_b64 s[6:7], -1
	s_mov_b64 s[10:11], 0
	s_waitcnt vmcnt(0)
	v_ffbh_u32_e32 v11, v10
	v_min_u32_e32 v11, 32, v11
	v_lshlrev_b64 v[9:10], v11, v[9:10]
	v_min_u32_e32 v9, 1, v9
	v_or_b32_e32 v9, v10, v9
	v_cvt_f32_u32_e32 v9, v9
	v_sub_u32_e32 v10, 32, v11
	v_ldexp_f32 v9, v9, v10
	s_branch .LBB19_1605
.LBB19_1603:
	s_mov_b64 s[0:1], -1
                                        ; implicit-def: $vgpr9
.LBB19_1604:
	s_mov_b64 s[10:11], 0
.LBB19_1605:
	s_and_b64 vcc, exec, s[10:11]
	s_cbranch_vccz .LBB19_1623
; %bb.1606:
	s_cmp_lt_i32 s14, 27
	s_cbranch_scc1 .LBB19_1609
; %bb.1607:
	s_cmp_gt_i32 s14, 27
	s_cbranch_scc0 .LBB19_1610
; %bb.1608:
	global_load_dword v9, v[7:8], off
	s_mov_b64 s[6:7], 0
	s_waitcnt vmcnt(0)
	v_cvt_f32_u32_e32 v9, v9
	s_branch .LBB19_1611
.LBB19_1609:
	s_mov_b64 s[6:7], -1
                                        ; implicit-def: $vgpr9
	s_branch .LBB19_1614
.LBB19_1610:
	s_mov_b64 s[6:7], -1
                                        ; implicit-def: $vgpr9
.LBB19_1611:
	s_andn2_b64 vcc, exec, s[6:7]
	s_cbranch_vccnz .LBB19_1613
; %bb.1612:
	global_load_ushort v9, v[7:8], off
	s_waitcnt vmcnt(0)
	v_cvt_f32_u32_e32 v9, v9
.LBB19_1613:
	s_mov_b64 s[6:7], 0
.LBB19_1614:
	s_andn2_b64 vcc, exec, s[6:7]
	s_cbranch_vccnz .LBB19_1622
; %bb.1615:
	global_load_ubyte v10, v[7:8], off
	s_movk_i32 s6, 0x7f
	s_waitcnt vmcnt(0)
	v_cmp_lt_i16_e32 vcc, s6, v10
	s_mov_b64 s[6:7], 0
	s_and_saveexec_b64 s[10:11], vcc
	s_xor_b64 s[10:11], exec, s[10:11]
	s_cbranch_execz .LBB19_1636
; %bb.1616:
	s_movk_i32 s6, 0x80
	v_cmp_eq_u16_e32 vcc, s6, v10
	s_mov_b64 s[6:7], -1
	s_and_saveexec_b64 s[12:13], vcc
; %bb.1617:
	s_xor_b64 s[6:7], exec, -1
; %bb.1618:
	s_or_b64 exec, exec, s[12:13]
	s_and_b64 s[6:7], s[6:7], exec
	s_or_saveexec_b64 s[10:11], s[10:11]
	v_mov_b32_e32 v9, 0x7f800001
	s_xor_b64 exec, exec, s[10:11]
	s_cbranch_execnz .LBB19_1637
.LBB19_1619:
	s_or_b64 exec, exec, s[10:11]
	s_and_saveexec_b64 s[10:11], s[6:7]
	s_cbranch_execz .LBB19_1621
.LBB19_1620:
	v_lshlrev_b32_e32 v9, 24, v10
	v_and_b32_e32 v10, 0xffff, v10
	v_and_b32_e32 v11, 7, v10
	v_ffbh_u32_e32 v13, v11
	v_min_u32_e32 v13, 32, v13
	v_subrev_u32_e32 v14, 28, v13
	v_bfe_u32 v12, v10, 3, 4
	v_lshlrev_b32_e32 v10, v14, v10
	v_sub_u32_e32 v13, 29, v13
	v_and_b32_e32 v10, 7, v10
	v_cmp_eq_u32_e32 vcc, 0, v12
	v_cndmask_b32_e32 v12, v12, v13, vcc
	v_cndmask_b32_e32 v10, v11, v10, vcc
	v_mov_b32_e32 v11, 0x3b800000
	v_lshlrev_b32_e32 v10, 20, v10
	v_and_b32_e32 v9, 0x80000000, v9
	v_lshl_add_u32 v11, v12, 23, v11
	v_or3_b32 v9, v9, v11, v10
.LBB19_1621:
	s_or_b64 exec, exec, s[10:11]
.LBB19_1622:
	s_mov_b64 s[6:7], -1
.LBB19_1623:
	s_mov_b64 s[10:11], 0
.LBB19_1624:
	s_and_b64 vcc, exec, s[10:11]
	s_cbranch_vccz .LBB19_1657
; %bb.1625:
	s_cmp_gt_i32 s14, 22
	s_cbranch_scc0 .LBB19_1635
; %bb.1626:
	s_cmp_lt_i32 s14, 24
	s_cbranch_scc1 .LBB19_1638
; %bb.1627:
	s_cmp_gt_i32 s14, 24
	s_cbranch_scc0 .LBB19_1639
; %bb.1628:
	global_load_ubyte v10, v[7:8], off
	s_movk_i32 s4, 0x7f
	s_waitcnt vmcnt(0)
	v_cmp_lt_i16_e32 vcc, s4, v10
	s_mov_b64 s[4:5], 0
	s_and_saveexec_b64 s[6:7], vcc
	s_xor_b64 s[6:7], exec, s[6:7]
	s_cbranch_execz .LBB19_1651
; %bb.1629:
	s_movk_i32 s4, 0x80
	v_cmp_eq_u16_e32 vcc, s4, v10
	s_mov_b64 s[4:5], -1
	s_and_saveexec_b64 s[10:11], vcc
; %bb.1630:
	s_xor_b64 s[4:5], exec, -1
; %bb.1631:
	s_or_b64 exec, exec, s[10:11]
	s_and_b64 s[4:5], s[4:5], exec
	s_or_saveexec_b64 s[6:7], s[6:7]
	v_mov_b32_e32 v9, 0x7f800001
	s_xor_b64 exec, exec, s[6:7]
	s_cbranch_execnz .LBB19_1652
.LBB19_1632:
	s_or_b64 exec, exec, s[6:7]
	s_and_saveexec_b64 s[6:7], s[4:5]
	s_cbranch_execz .LBB19_1634
.LBB19_1633:
	v_lshlrev_b32_e32 v9, 24, v10
	v_and_b32_e32 v10, 0xffff, v10
	v_and_b32_e32 v11, 3, v10
	v_ffbh_u32_e32 v13, v11
	v_min_u32_e32 v13, 32, v13
	v_subrev_u32_e32 v14, 29, v13
	v_bfe_u32 v12, v10, 2, 5
	v_lshlrev_b32_e32 v10, v14, v10
	v_sub_u32_e32 v13, 30, v13
	v_and_b32_e32 v10, 3, v10
	v_cmp_eq_u32_e32 vcc, 0, v12
	v_cndmask_b32_e32 v12, v12, v13, vcc
	v_cndmask_b32_e32 v10, v11, v10, vcc
	v_mov_b32_e32 v11, 0x37800000
	v_lshlrev_b32_e32 v10, 21, v10
	v_and_b32_e32 v9, 0x80000000, v9
	v_lshl_add_u32 v11, v12, 23, v11
	v_or3_b32 v9, v9, v11, v10
.LBB19_1634:
	s_or_b64 exec, exec, s[6:7]
	s_mov_b64 s[4:5], 0
	s_branch .LBB19_1640
.LBB19_1635:
	s_mov_b64 s[4:5], -1
                                        ; implicit-def: $vgpr9
	s_branch .LBB19_1646
.LBB19_1636:
	s_or_saveexec_b64 s[10:11], s[10:11]
	v_mov_b32_e32 v9, 0x7f800001
	s_xor_b64 exec, exec, s[10:11]
	s_cbranch_execz .LBB19_1619
.LBB19_1637:
	v_cmp_ne_u16_e32 vcc, 0, v10
	s_andn2_b64 s[6:7], s[6:7], exec
	s_and_b64 s[12:13], vcc, exec
	v_mov_b32_e32 v9, 0
	s_or_b64 s[6:7], s[6:7], s[12:13]
	s_or_b64 exec, exec, s[10:11]
	s_and_saveexec_b64 s[10:11], s[6:7]
	s_cbranch_execnz .LBB19_1620
	s_branch .LBB19_1621
.LBB19_1638:
	s_mov_b64 s[4:5], -1
                                        ; implicit-def: $vgpr9
	s_branch .LBB19_1643
.LBB19_1639:
	s_mov_b64 s[4:5], -1
                                        ; implicit-def: $vgpr9
.LBB19_1640:
	s_and_b64 vcc, exec, s[4:5]
	s_cbranch_vccz .LBB19_1642
; %bb.1641:
	global_load_ubyte v9, v[7:8], off
	s_mov_b32 s4, 0x7f800000
	s_waitcnt vmcnt(0)
	v_lshlrev_b32_e32 v9, 24, v9
	v_and_b32_e32 v10, 0x7f000000, v9
	v_ffbh_u32_e32 v11, v10
	v_min_u32_e32 v11, 32, v11
	v_sub_u32_e64 v11, v11, 4 clamp
	v_lshlrev_b32_e32 v13, v11, v10
	v_lshlrev_b32_e32 v11, 23, v11
	v_lshrrev_b32_e32 v13, 4, v13
	v_add_u32_e32 v12, 0x1000000, v10
	v_sub_u32_e32 v11, v13, v11
	v_ashrrev_i32_e32 v12, 8, v12
	v_add_u32_e32 v11, 0x3c000000, v11
	v_and_or_b32 v11, v12, s4, v11
	v_cmp_ne_u32_e32 vcc, 0, v10
	v_cndmask_b32_e32 v10, 0, v11, vcc
	s_brev_b32 s4, 1
	v_and_or_b32 v9, v9, s4, v10
.LBB19_1642:
	s_mov_b64 s[4:5], 0
.LBB19_1643:
	s_andn2_b64 vcc, exec, s[4:5]
	s_cbranch_vccnz .LBB19_1645
; %bb.1644:
	global_load_ubyte v9, v[7:8], off
	s_movk_i32 s4, 0x7f00
	s_brev_b32 s5, 16
	s_waitcnt vmcnt(0)
	v_lshlrev_b16_e32 v10, 8, v9
	v_lshlrev_b32_e32 v9, 25, v9
	v_lshrrev_b32_e32 v11, 4, v9
	v_and_or_b32 v12, v10, s4, 0.5
	v_or_b32_e32 v11, 0x70000000, v11
	v_add_f32_e32 v12, -0.5, v12
	v_mul_f32_e32 v11, 0x7800000, v11
	v_cmp_gt_u32_e32 vcc, s5, v9
	v_bfe_i32 v10, v10, 0, 16
	v_cndmask_b32_e32 v9, v11, v12, vcc
	s_brev_b32 s4, 1
	v_and_or_b32 v9, v10, s4, v9
.LBB19_1645:
	s_mov_b64 s[4:5], 0
	s_mov_b64 s[6:7], -1
.LBB19_1646:
	s_andn2_b64 vcc, exec, s[4:5]
	s_mov_b64 s[4:5], 0
	s_cbranch_vccnz .LBB19_1657
; %bb.1647:
	s_cmp_gt_i32 s14, 14
	s_cbranch_scc0 .LBB19_1650
; %bb.1648:
	s_cmp_eq_u32 s14, 15
	s_cbranch_scc0 .LBB19_1653
; %bb.1649:
	global_load_ushort v9, v[7:8], off
	s_mov_b64 s[0:1], 0
	s_mov_b64 s[6:7], -1
	s_waitcnt vmcnt(0)
	v_lshlrev_b32_e32 v9, 16, v9
	s_branch .LBB19_1654
.LBB19_1650:
	s_mov_b64 s[10:11], -1
                                        ; implicit-def: $vgpr9
	s_branch .LBB19_1655
.LBB19_1651:
	s_or_saveexec_b64 s[6:7], s[6:7]
	v_mov_b32_e32 v9, 0x7f800001
	s_xor_b64 exec, exec, s[6:7]
	s_cbranch_execz .LBB19_1632
.LBB19_1652:
	v_cmp_ne_u16_e32 vcc, 0, v10
	s_andn2_b64 s[4:5], s[4:5], exec
	s_and_b64 s[10:11], vcc, exec
	v_mov_b32_e32 v9, 0
	s_or_b64 s[4:5], s[4:5], s[10:11]
	s_or_b64 exec, exec, s[6:7]
	s_and_saveexec_b64 s[6:7], s[4:5]
	s_cbranch_execnz .LBB19_1633
	s_branch .LBB19_1634
.LBB19_1653:
	s_mov_b64 s[0:1], -1
                                        ; implicit-def: $vgpr9
.LBB19_1654:
	s_mov_b64 s[10:11], 0
.LBB19_1655:
	s_and_b64 vcc, exec, s[10:11]
	s_cbranch_vccz .LBB19_1657
; %bb.1656:
	s_cmp_lg_u32 s14, 11
	s_mov_b64 s[4:5], -1
	s_cselect_b64 s[0:1], -1, 0
.LBB19_1657:
	s_and_b64 vcc, exec, s[0:1]
	s_cbranch_vccnz .LBB19_2200
; %bb.1658:
	s_andn2_b64 vcc, exec, s[4:5]
	s_cbranch_vccnz .LBB19_1660
.LBB19_1659:
	global_load_ubyte v9, v[7:8], off
	s_mov_b64 s[6:7], -1
	s_waitcnt vmcnt(0)
	v_cmp_ne_u16_e32 vcc, 0, v9
	v_cndmask_b32_e64 v9, 0, 1.0, vcc
.LBB19_1660:
	s_mov_b64 s[0:1], 0
.LBB19_1661:
	s_and_b64 vcc, exec, s[0:1]
	s_cbranch_vccz .LBB19_1710
; %bb.1662:
	s_and_b32 s4, 0xffff, s17
	s_cmp_lt_i32 s4, 5
	s_cbranch_scc1 .LBB19_1667
; %bb.1663:
	s_cmp_lt_i32 s4, 8
	s_cbranch_scc1 .LBB19_1668
; %bb.1664:
	;; [unrolled: 3-line block ×3, first 2 shown]
	s_cmp_gt_i32 s4, 9
	s_cbranch_scc0 .LBB19_1670
; %bb.1666:
	global_load_dwordx2 v[9:10], v[7:8], off
	s_mov_b64 s[0:1], 0
	s_waitcnt vmcnt(0)
	v_cvt_f32_f64_e32 v9, v[9:10]
	s_branch .LBB19_1671
.LBB19_1667:
	s_mov_b64 s[0:1], -1
                                        ; implicit-def: $vgpr9
	s_branch .LBB19_1689
.LBB19_1668:
	s_mov_b64 s[0:1], -1
                                        ; implicit-def: $vgpr9
	s_branch .LBB19_1677
.LBB19_1669:
	s_mov_b64 s[0:1], -1
                                        ; implicit-def: $vgpr9
	s_branch .LBB19_1674
.LBB19_1670:
	s_mov_b64 s[0:1], -1
                                        ; implicit-def: $vgpr9
.LBB19_1671:
	s_andn2_b64 vcc, exec, s[0:1]
	s_cbranch_vccnz .LBB19_1673
; %bb.1672:
	global_load_dword v9, v[7:8], off
.LBB19_1673:
	s_mov_b64 s[0:1], 0
.LBB19_1674:
	s_andn2_b64 vcc, exec, s[0:1]
	s_cbranch_vccnz .LBB19_1676
; %bb.1675:
	global_load_dword v9, v[7:8], off
	s_waitcnt vmcnt(0)
	v_cvt_f32_f16_e32 v9, v9
.LBB19_1676:
	s_mov_b64 s[0:1], 0
.LBB19_1677:
	s_andn2_b64 vcc, exec, s[0:1]
	s_cbranch_vccnz .LBB19_1688
; %bb.1678:
	s_cmp_lt_i32 s4, 6
	s_cbranch_scc1 .LBB19_1681
; %bb.1679:
	s_cmp_gt_i32 s4, 6
	s_cbranch_scc0 .LBB19_1682
; %bb.1680:
	global_load_dwordx2 v[9:10], v[7:8], off
	s_mov_b64 s[0:1], 0
	s_waitcnt vmcnt(0)
	v_cvt_f32_f64_e32 v9, v[9:10]
	s_branch .LBB19_1683
.LBB19_1681:
	s_mov_b64 s[0:1], -1
                                        ; implicit-def: $vgpr9
	s_branch .LBB19_1686
.LBB19_1682:
	s_mov_b64 s[0:1], -1
                                        ; implicit-def: $vgpr9
.LBB19_1683:
	s_andn2_b64 vcc, exec, s[0:1]
	s_cbranch_vccnz .LBB19_1685
; %bb.1684:
	global_load_dword v9, v[7:8], off
.LBB19_1685:
	s_mov_b64 s[0:1], 0
.LBB19_1686:
	s_andn2_b64 vcc, exec, s[0:1]
	s_cbranch_vccnz .LBB19_1688
; %bb.1687:
	global_load_ushort v9, v[7:8], off
	s_waitcnt vmcnt(0)
	v_cvt_f32_f16_e32 v9, v9
.LBB19_1688:
	s_mov_b64 s[0:1], 0
.LBB19_1689:
	s_andn2_b64 vcc, exec, s[0:1]
	s_cbranch_vccnz .LBB19_1709
; %bb.1690:
	s_cmp_lt_i32 s4, 2
	s_cbranch_scc1 .LBB19_1694
; %bb.1691:
	s_cmp_lt_i32 s4, 3
	s_cbranch_scc1 .LBB19_1695
; %bb.1692:
	s_cmp_gt_i32 s4, 3
	s_cbranch_scc0 .LBB19_1696
; %bb.1693:
	global_load_dwordx2 v[9:10], v[7:8], off
	s_mov_b64 s[0:1], 0
	s_waitcnt vmcnt(0)
	v_xor_b32_e32 v12, v9, v10
	v_ffbh_i32_e32 v11, v10
	v_ashrrev_i32_e32 v12, 31, v12
	v_add_u32_e32 v11, -1, v11
	v_add_u32_e32 v12, 32, v12
	v_min_u32_e32 v11, v11, v12
	v_lshlrev_b64 v[9:10], v11, v[9:10]
	v_min_u32_e32 v9, 1, v9
	v_or_b32_e32 v9, v10, v9
	v_cvt_f32_i32_e32 v9, v9
	v_sub_u32_e32 v10, 32, v11
	v_ldexp_f32 v9, v9, v10
	s_branch .LBB19_1697
.LBB19_1694:
	s_mov_b64 s[0:1], -1
                                        ; implicit-def: $vgpr9
	s_branch .LBB19_1703
.LBB19_1695:
	s_mov_b64 s[0:1], -1
                                        ; implicit-def: $vgpr9
	s_branch .LBB19_1700
.LBB19_1696:
	s_mov_b64 s[0:1], -1
                                        ; implicit-def: $vgpr9
.LBB19_1697:
	s_andn2_b64 vcc, exec, s[0:1]
	s_cbranch_vccnz .LBB19_1699
; %bb.1698:
	global_load_dword v9, v[7:8], off
	s_waitcnt vmcnt(0)
	v_cvt_f32_i32_e32 v9, v9
.LBB19_1699:
	s_mov_b64 s[0:1], 0
.LBB19_1700:
	s_andn2_b64 vcc, exec, s[0:1]
	s_cbranch_vccnz .LBB19_1702
; %bb.1701:
	global_load_sshort v9, v[7:8], off
	s_waitcnt vmcnt(0)
	v_cvt_f32_i32_e32 v9, v9
.LBB19_1702:
	s_mov_b64 s[0:1], 0
.LBB19_1703:
	s_andn2_b64 vcc, exec, s[0:1]
	s_cbranch_vccnz .LBB19_1709
; %bb.1704:
	s_cmp_gt_i32 s4, 0
	s_cbranch_scc0 .LBB19_1706
; %bb.1705:
	global_load_sbyte v9, v[7:8], off
	s_mov_b64 s[0:1], 0
	s_waitcnt vmcnt(0)
	v_cvt_f32_i32_e32 v9, v9
	s_branch .LBB19_1707
.LBB19_1706:
	s_mov_b64 s[0:1], -1
                                        ; implicit-def: $vgpr9
.LBB19_1707:
	s_andn2_b64 vcc, exec, s[0:1]
	s_cbranch_vccnz .LBB19_1709
; %bb.1708:
	global_load_ubyte v7, v[7:8], off
	s_waitcnt vmcnt(0)
	v_cvt_f32_ubyte0_e32 v9, v7
.LBB19_1709:
	s_mov_b64 s[6:7], -1
.LBB19_1710:
	s_andn2_b64 vcc, exec, s[6:7]
	s_cbranch_vccnz .LBB19_1797
; %bb.1711:
	s_waitcnt vmcnt(0)
	v_cmp_neq_f32_e32 vcc, 0, v9
	v_mov_b32_e32 v7, 0x7f800000
	s_and_saveexec_b64 s[4:5], vcc
	s_cbranch_execz .LBB19_1719
; %bb.1712:
	v_cmp_ngt_f32_e32 vcc, 0, v9
	v_mov_b32_e32 v7, 0x7fc00000
	s_and_saveexec_b64 s[6:7], vcc
	s_cbranch_execz .LBB19_1718
; %bb.1713:
	v_cmp_ge_f32_e32 vcc, 2.0, v9
                                        ; implicit-def: $vgpr7
	s_and_saveexec_b64 s[0:1], vcc
	s_xor_b64 s[10:11], exec, s[0:1]
	s_cbranch_execz .LBB19_1715
; %bb.1714:
	v_fma_f32 v7, v9, v9, -2.0
	v_mov_b32_e32 v8, 0x293fd856
	v_fmac_f32_e32 v8, 0x251e770f, v7
	v_mov_b32_e32 v10, 0xa51e770f
	v_fmac_f32_e32 v10, v7, v8
	v_add_f32_e32 v10, 0x2d3612e2, v10
	v_fma_f32 v8, v7, v10, -v8
	v_add_f32_e32 v8, 0x3102e09b, v8
	v_fma_f32 v10, v7, v8, -v10
	;; [unrolled: 2-line block ×7, first 2 shown]
	v_mul_f32_e32 v10, 0.5, v9
	s_mov_b32 s0, 0x800000
	v_cmp_gt_f32_e32 vcc, s0, v10
	v_cndmask_b32_e64 v11, 0, 32, vcc
	v_ldexp_f32 v10, v10, v11
	v_log_f32_e32 v10, v10
	v_add_f32_e32 v7, 0xbf090b37, v7
	v_sub_f32_e32 v7, v7, v8
	s_mov_b32 s0, 0x3f317217
	v_mul_f32_e32 v8, 0x3f317217, v10
	v_fma_f32 v8, v10, s0, -v8
	v_fmac_f32_e32 v8, 0x3377d1cf, v10
	s_mov_b32 s0, 0x7f800000
	v_fmac_f32_e32 v8, 0x3f317217, v10
	v_cmp_lt_f32_e64 s[0:1], |v10|, s0
	v_cndmask_b32_e64 v8, v10, v8, s[0:1]
	v_mul_f32_e32 v10, 0x3fb8aa3b, v9
	s_mov_b32 s0, 0x3fb8aa3b
	v_rndne_f32_e32 v11, v10
	v_sub_f32_e32 v12, v10, v11
	v_fma_f32 v10, v9, s0, -v10
	v_fmac_f32_e32 v10, 0x32a5705f, v9
	v_add_f32_e32 v10, v12, v10
	v_exp_f32_e32 v10, v10
	v_cvt_i32_f32_e32 v11, v11
	v_mov_b32_e32 v12, 0x41b17218
	s_mov_b32 s0, 0xc2ce8ed0
	v_cndmask_b32_e32 v12, 0, v12, vcc
	v_ldexp_f32 v10, v10, v11
	v_cmp_ngt_f32_e32 vcc, s0, v9
	s_mov_b32 s0, 0x42b17218
	v_cndmask_b32_e32 v10, 0, v10, vcc
	v_mov_b32_e32 v11, 0x7f800000
	v_cmp_nlt_f32_e32 vcc, s0, v9
	v_cndmask_b32_e32 v10, v11, v10, vcc
	v_fma_f32 v9, v9, 0.5, -2.0
	v_mov_b32_e32 v11, 0x24199b15
	v_sub_f32_e32 v8, v8, v12
	v_fmac_f32_e32 v11, 0xa2a2e5b9, v9
	v_mov_b32_e32 v12, 0x22a2e5b9
	v_fmac_f32_e32 v12, v9, v11
	v_add_f32_e32 v12, 0xa58c275c, v12
	v_fma_f32 v11, v9, v12, -v11
	v_add_f32_e32 v11, 0x26f736c5, v11
	v_fma_f32 v12, v9, v11, -v12
	;; [unrolled: 2-line block ×27, first 2 shown]
	v_add_f32_e32 v9, 0x3f2d4275, v9
	v_sub_f32_e32 v9, v9, v11
	v_mul_f32_e32 v9, 0.5, v9
	v_mul_f32_e32 v9, v10, v9
	v_mul_f32_e32 v8, v8, v9
	v_fma_f32 v7, v7, 0.5, -v8
	v_mul_f32_e32 v7, v10, v7
                                        ; implicit-def: $vgpr9
.LBB19_1715:
	s_andn2_saveexec_b64 s[10:11], s[10:11]
	s_cbranch_execz .LBB19_1717
; %bb.1716:
	s_mov_b32 s12, 0x41000000
	v_div_scale_f32 v7, s[0:1], v9, v9, s12
	v_div_scale_f32 v8, vcc, s12, v9, s12
	s_mov_b32 s0, 0xf800000
	v_mul_f32_e32 v10, 0x4f800000, v9
	v_cmp_gt_f32_e64 s[0:1], s0, v9
	v_cndmask_b32_e64 v10, v9, v10, s[0:1]
	v_sqrt_f32_e32 v12, v10
	v_add_u32_e32 v15, 1, v12
	v_fma_f32 v17, -v15, v12, v10
	v_rcp_f32_e32 v11, v7
	v_fma_f32 v13, -v7, v11, 1.0
	v_fmac_f32_e32 v11, v13, v11
	v_mul_f32_e32 v13, v8, v11
	v_fma_f32 v14, -v7, v13, v8
	v_fmac_f32_e32 v13, v14, v11
	v_fma_f32 v7, -v7, v13, v8
	v_div_fmas_f32 v7, v7, v11, v13
	v_mov_b32_e32 v8, 0xa397f665
	v_mov_b32_e32 v11, 0xa2c38d2e
	v_add_u32_e32 v14, -1, v12
	v_fma_f32 v16, -v14, v12, v10
	v_cmp_ge_f32_e32 vcc, 0, v16
	v_cndmask_b32_e32 v12, v12, v14, vcc
	v_cmp_lt_f32_e32 vcc, 0, v17
	v_cndmask_b32_e32 v12, v12, v15, vcc
	v_mov_b32_e32 v13, 0x260
	v_mul_f32_e32 v14, 0x37800000, v12
	v_cndmask_b32_e64 v12, v12, v14, s[0:1]
	v_cmp_class_f32_e32 vcc, v10, v13
	v_cndmask_b32_e32 v10, v12, v10, vcc
	v_div_fixup_f32 v7, v7, v9, s12
	v_add_f32_e32 v7, -2.0, v7
	v_fmac_f32_e32 v8, 0x22c38d2e, v7
	v_fmac_f32_e32 v11, v7, v8
	v_add_f32_e32 v9, 0x24704972, v11
	v_fma_f32 v8, v7, v9, -v8
	v_add_f32_e32 v8, 0xa5417ca4, v8
	v_fma_f32 v9, v7, v8, -v9
	;; [unrolled: 2-line block ×22, first 2 shown]
	v_add_f32_e32 v7, 0x401c2ded, v7
	v_sub_f32_e32 v7, v7, v9
	v_mul_f32_e32 v7, 0.5, v7
	v_div_scale_f32 v8, s[0:1], v10, v10, v7
	v_div_scale_f32 v9, vcc, v7, v10, v7
	v_rcp_f32_e32 v11, v8
	v_fma_f32 v12, -v8, v11, 1.0
	v_fmac_f32_e32 v11, v12, v11
	v_mul_f32_e32 v12, v9, v11
	v_fma_f32 v13, -v8, v12, v9
	v_fmac_f32_e32 v12, v13, v11
	v_fma_f32 v8, -v8, v12, v9
	v_div_fmas_f32 v8, v8, v11, v12
	v_div_fixup_f32 v7, v8, v10, v7
.LBB19_1717:
	s_or_b64 exec, exec, s[10:11]
.LBB19_1718:
	s_or_b64 exec, exec, s[6:7]
.LBB19_1719:
	s_or_b64 exec, exec, s[4:5]
	s_bfe_u32 s14, s16, 0x80008
	v_mov_b32_e32 v9, s9
	v_add_co_u32_e32 v8, vcc, s8, v6
	s_cmp_lt_i32 s14, 11
	v_addc_co_u32_e32 v9, vcc, 0, v9, vcc
	s_cbranch_scc1 .LBB19_1843
; %bb.1720:
	s_and_b32 s15, 0xffff, s14
	s_mov_b64 s[10:11], -1
	s_mov_b64 s[4:5], 0
	s_cmp_gt_i32 s15, 25
	s_mov_b64 s[6:7], 0
	s_mov_b64 s[0:1], 0
	s_cbranch_scc0 .LBB19_1753
; %bb.1721:
	s_cmp_gt_i32 s15, 28
	s_cbranch_scc0 .LBB19_1736
; %bb.1722:
	s_cmp_gt_i32 s15, 43
	;; [unrolled: 3-line block ×3, first 2 shown]
	s_cbranch_scc0 .LBB19_1726
; %bb.1724:
	s_mov_b64 s[0:1], -1
	s_mov_b64 s[10:11], 0
	s_cmp_eq_u32 s15, 46
	s_cbranch_scc0 .LBB19_1726
; %bb.1725:
	v_bfe_u32 v6, v5, 16, 1
	s_movk_i32 s0, 0x7fff
	v_add3_u32 v6, v5, v6, s0
	v_cmp_o_f32_e32 vcc, v5, v5
	v_mov_b32_e32 v10, 0x7fc0
	v_cndmask_b32_sdwa v6, v10, v6, vcc dst_sel:DWORD dst_unused:UNUSED_PAD src0_sel:DWORD src1_sel:WORD_1
	global_store_dword v[8:9], v6, off
	s_mov_b64 s[0:1], 0
	s_mov_b64 s[6:7], -1
.LBB19_1726:
	s_and_b64 vcc, exec, s[10:11]
	s_cbranch_vccz .LBB19_1731
; %bb.1727:
	s_cmp_eq_u32 s15, 44
	s_mov_b64 s[0:1], -1
	s_cbranch_scc0 .LBB19_1731
; %bb.1728:
	v_bfe_u32 v6, v5, 23, 8
	s_movk_i32 s0, 0xff
	v_cmp_ne_u32_e32 vcc, s0, v6
	v_mov_b32_e32 v10, 0xff
	s_and_saveexec_b64 s[6:7], vcc
; %bb.1729:
	s_mov_b32 s0, 0x3fffff
	v_and_b32_e32 v11, 0x400000, v5
	v_and_or_b32 v6, v5, s0, v6
	v_cmp_ne_u32_e32 vcc, 0, v11
	v_cmp_ne_u32_e64 s[0:1], 0, v6
	s_and_b64 s[0:1], vcc, s[0:1]
	v_lshrrev_b32_e32 v10, 23, v5
	v_cndmask_b32_e64 v6, 0, 1, s[0:1]
	v_add_u32_e32 v10, v10, v6
; %bb.1730:
	s_or_b64 exec, exec, s[6:7]
	s_mov_b64 s[0:1], 0
	s_mov_b64 s[6:7], -1
	global_store_byte v[8:9], v10, off
.LBB19_1731:
	s_mov_b64 s[10:11], 0
.LBB19_1732:
	s_and_b64 vcc, exec, s[10:11]
	s_cbranch_vccz .LBB19_1735
; %bb.1733:
	s_cmp_eq_u32 s15, 29
	s_mov_b64 s[0:1], -1
	s_cbranch_scc0 .LBB19_1735
; %bb.1734:
	v_trunc_f32_e32 v6, v5
	v_mul_f32_e32 v10, 0x2f800000, v6
	v_floor_f32_e32 v10, v10
	v_fmac_f32_e32 v6, 0xcf800000, v10
	v_cvt_u32_f32_e32 v11, v10
	v_cvt_u32_f32_e32 v10, v6
	s_mov_b64 s[0:1], 0
	s_mov_b64 s[6:7], -1
	global_store_dwordx2 v[8:9], v[10:11], off
.LBB19_1735:
	s_mov_b64 s[10:11], 0
.LBB19_1736:
	s_and_b64 vcc, exec, s[10:11]
	s_cbranch_vccz .LBB19_1752
; %bb.1737:
	s_cmp_lt_i32 s15, 27
	s_mov_b64 s[6:7], -1
	s_cbranch_scc1 .LBB19_1743
; %bb.1738:
	v_cvt_u32_f32_e32 v6, v5
	s_cmp_gt_i32 s15, 27
	s_cbranch_scc0 .LBB19_1740
; %bb.1739:
	s_mov_b64 s[6:7], 0
	global_store_dword v[8:9], v6, off
.LBB19_1740:
	s_andn2_b64 vcc, exec, s[6:7]
	s_cbranch_vccnz .LBB19_1742
; %bb.1741:
	global_store_short v[8:9], v6, off
.LBB19_1742:
	s_mov_b64 s[6:7], 0
.LBB19_1743:
	s_andn2_b64 vcc, exec, s[6:7]
	s_cbranch_vccnz .LBB19_1751
; %bb.1744:
	v_and_b32_e32 v6, 0x7fffffff, v5
	s_mov_b32 s6, 0x43800000
	v_cmp_gt_u32_e32 vcc, s6, v6
	v_mov_b32_e32 v10, 0x80
	s_and_saveexec_b64 s[6:7], vcc
	s_cbranch_execz .LBB19_1750
; %bb.1745:
	s_mov_b32 s10, 0x3bffffff
	v_cmp_lt_u32_e32 vcc, s10, v6
	s_mov_b64 s[10:11], 0
                                        ; implicit-def: $vgpr6
	s_and_saveexec_b64 s[12:13], vcc
	s_xor_b64 s[12:13], exec, s[12:13]
	s_cbranch_execz .LBB19_2201
; %bb.1746:
	v_bfe_u32 v6, v5, 20, 1
	s_mov_b32 s17, 0x487ffff
	v_add3_u32 v6, v5, v6, s17
	s_mov_b64 s[10:11], exec
	v_lshrrev_b32_e32 v6, 20, v6
	s_andn2_saveexec_b64 s[12:13], s[12:13]
	s_cbranch_execnz .LBB19_2202
.LBB19_1747:
	s_or_b64 exec, exec, s[12:13]
	v_mov_b32_e32 v10, 0
	s_and_saveexec_b64 s[12:13], s[10:11]
.LBB19_1748:
	v_lshrrev_b32_e32 v10, 24, v5
	s_movk_i32 s10, 0x80
	v_and_or_b32 v10, v10, s10, v6
.LBB19_1749:
	s_or_b64 exec, exec, s[12:13]
.LBB19_1750:
	s_or_b64 exec, exec, s[6:7]
	global_store_byte v[8:9], v10, off
.LBB19_1751:
	s_mov_b64 s[6:7], -1
.LBB19_1752:
	s_mov_b64 s[10:11], 0
.LBB19_1753:
	s_and_b64 vcc, exec, s[10:11]
	s_cbranch_vccz .LBB19_1793
; %bb.1754:
	s_cmp_gt_i32 s15, 22
	s_mov_b64 s[4:5], -1
	s_cbranch_scc0 .LBB19_1786
; %bb.1755:
	s_cmp_lt_i32 s15, 24
	s_cbranch_scc1 .LBB19_1775
; %bb.1756:
	s_cmp_gt_i32 s15, 24
	s_cbranch_scc0 .LBB19_1764
; %bb.1757:
	v_and_b32_e32 v6, 0x7fffffff, v5
	s_mov_b32 s4, 0x47800000
	v_cmp_gt_u32_e32 vcc, s4, v6
	v_mov_b32_e32 v10, 0x80
	s_and_saveexec_b64 s[4:5], vcc
	s_cbranch_execz .LBB19_1763
; %bb.1758:
	s_mov_b32 s6, 0x37ffffff
	v_cmp_lt_u32_e32 vcc, s6, v6
	s_mov_b64 s[6:7], 0
                                        ; implicit-def: $vgpr6
	s_and_saveexec_b64 s[10:11], vcc
	s_xor_b64 s[10:11], exec, s[10:11]
	s_cbranch_execz .LBB19_2204
; %bb.1759:
	v_bfe_u32 v6, v5, 21, 1
	s_mov_b32 s12, 0x88fffff
	v_add3_u32 v6, v5, v6, s12
	s_mov_b64 s[6:7], exec
	v_lshrrev_b32_e32 v6, 21, v6
	s_andn2_saveexec_b64 s[10:11], s[10:11]
	s_cbranch_execnz .LBB19_2205
.LBB19_1760:
	s_or_b64 exec, exec, s[10:11]
	v_mov_b32_e32 v10, 0
	s_and_saveexec_b64 s[10:11], s[6:7]
.LBB19_1761:
	v_lshrrev_b32_e32 v10, 24, v5
	s_movk_i32 s6, 0x80
	v_and_or_b32 v10, v10, s6, v6
.LBB19_1762:
	s_or_b64 exec, exec, s[10:11]
.LBB19_1763:
	s_or_b64 exec, exec, s[4:5]
	s_mov_b64 s[4:5], 0
	global_store_byte v[8:9], v10, off
.LBB19_1764:
	s_and_b64 vcc, exec, s[4:5]
	s_cbranch_vccz .LBB19_1774
; %bb.1765:
	v_and_b32_e32 v10, 0x7fffffff, v5
	s_mov_b32 s4, 0x43f00000
	v_cmp_gt_u32_e32 vcc, s4, v10
                                        ; implicit-def: $vgpr6
	s_and_saveexec_b64 s[4:5], vcc
	s_xor_b64 s[4:5], exec, s[4:5]
	s_cbranch_execz .LBB19_1771
; %bb.1766:
	s_mov_b32 s6, 0x3c7fffff
	v_cmp_lt_u32_e32 vcc, s6, v10
                                        ; implicit-def: $vgpr6
	s_and_saveexec_b64 s[6:7], vcc
	s_xor_b64 s[6:7], exec, s[6:7]
; %bb.1767:
	v_bfe_u32 v6, v5, 20, 1
	s_mov_b32 s10, 0x407ffff
	v_add3_u32 v6, v5, v6, s10
	v_lshrrev_b32_e32 v10, 20, v6
	v_and_b32_e32 v6, 0xff00000, v6
	s_mov_b32 s10, 0x7f00000
	v_mov_b32_e32 v11, 0x7e
	v_cmp_ne_u32_e32 vcc, s10, v6
	v_cndmask_b32_e32 v6, v11, v10, vcc
; %bb.1768:
	s_andn2_saveexec_b64 s[6:7], s[6:7]
; %bb.1769:
	s_mov_b32 s10, 0x46800000
	v_add_f32_e64 v6, |v5|, s10
; %bb.1770:
	s_or_b64 exec, exec, s[6:7]
                                        ; implicit-def: $vgpr10
.LBB19_1771:
	s_andn2_saveexec_b64 s[4:5], s[4:5]
; %bb.1772:
	s_mov_b32 s6, 0x7f800000
	v_mov_b32_e32 v6, 0x7e
	v_mov_b32_e32 v11, 0x7f
	v_cmp_lt_u32_e32 vcc, s6, v10
	v_cndmask_b32_e32 v6, v6, v11, vcc
; %bb.1773:
	s_or_b64 exec, exec, s[4:5]
	v_lshrrev_b32_e32 v10, 24, v5
	s_movk_i32 s4, 0x80
	v_and_or_b32 v6, v10, s4, v6
	global_store_byte v[8:9], v6, off
.LBB19_1774:
	s_mov_b64 s[4:5], 0
.LBB19_1775:
	s_andn2_b64 vcc, exec, s[4:5]
	s_cbranch_vccnz .LBB19_1785
; %bb.1776:
	v_and_b32_e32 v10, 0x7fffffff, v5
	s_mov_b32 s4, 0x47800000
	v_cmp_gt_u32_e32 vcc, s4, v10
                                        ; implicit-def: $vgpr6
	s_and_saveexec_b64 s[4:5], vcc
	s_xor_b64 s[4:5], exec, s[4:5]
	s_cbranch_execz .LBB19_1782
; %bb.1777:
	s_mov_b32 s6, 0x387fffff
	v_cmp_lt_u32_e32 vcc, s6, v10
                                        ; implicit-def: $vgpr6
	s_and_saveexec_b64 s[6:7], vcc
	s_xor_b64 s[6:7], exec, s[6:7]
; %bb.1778:
	v_bfe_u32 v6, v5, 21, 1
	s_mov_b32 s10, 0x80fffff
	v_add3_u32 v6, v5, v6, s10
	v_lshrrev_b32_e32 v6, 21, v6
; %bb.1779:
	s_andn2_saveexec_b64 s[6:7], s[6:7]
; %bb.1780:
	s_mov_b32 s10, 0x43000000
	v_add_f32_e64 v6, |v5|, s10
; %bb.1781:
	s_or_b64 exec, exec, s[6:7]
                                        ; implicit-def: $vgpr10
.LBB19_1782:
	s_andn2_saveexec_b64 s[4:5], s[4:5]
; %bb.1783:
	s_mov_b32 s6, 0x7f800000
	v_mov_b32_e32 v6, 0x7c
	v_mov_b32_e32 v11, 0x7f
	v_cmp_lt_u32_e32 vcc, s6, v10
	v_cndmask_b32_e32 v6, v6, v11, vcc
; %bb.1784:
	s_or_b64 exec, exec, s[4:5]
	v_lshrrev_b32_e32 v10, 24, v5
	s_movk_i32 s4, 0x80
	v_and_or_b32 v6, v10, s4, v6
	global_store_byte v[8:9], v6, off
.LBB19_1785:
	s_mov_b64 s[4:5], 0
	s_mov_b64 s[6:7], -1
.LBB19_1786:
	s_andn2_b64 vcc, exec, s[4:5]
	s_mov_b64 s[4:5], 0
	s_cbranch_vccnz .LBB19_1793
; %bb.1787:
	s_cmp_gt_i32 s15, 14
	s_mov_b64 s[10:11], -1
	s_cbranch_scc0 .LBB19_1791
; %bb.1788:
	s_cmp_eq_u32 s15, 15
	s_mov_b64 s[0:1], -1
	s_cbranch_scc0 .LBB19_1790
; %bb.1789:
	v_bfe_u32 v6, v5, 16, 1
	s_movk_i32 s0, 0x7fff
	v_add3_u32 v6, v5, v6, s0
	v_cmp_o_f32_e32 vcc, v5, v5
	v_mov_b32_e32 v10, 0x7fc0
	v_cndmask_b32_sdwa v6, v10, v6, vcc dst_sel:DWORD dst_unused:UNUSED_PAD src0_sel:DWORD src1_sel:WORD_1
	global_store_short v[8:9], v6, off
	s_mov_b64 s[0:1], 0
	s_mov_b64 s[6:7], -1
.LBB19_1790:
	s_mov_b64 s[10:11], 0
.LBB19_1791:
	s_and_b64 vcc, exec, s[10:11]
	s_cbranch_vccz .LBB19_1793
; %bb.1792:
	s_cmp_lg_u32 s15, 11
	s_mov_b64 s[4:5], -1
	s_cselect_b64 s[0:1], -1, 0
.LBB19_1793:
	s_and_b64 vcc, exec, s[0:1]
	s_cbranch_vccnz .LBB19_2203
; %bb.1794:
	s_andn2_b64 vcc, exec, s[4:5]
	s_cbranch_vccnz .LBB19_1796
.LBB19_1795:
	v_cmp_neq_f32_e32 vcc, 0, v5
	v_cndmask_b32_e64 v6, 0, 1, vcc
	s_mov_b64 s[6:7], -1
	global_store_byte v[8:9], v6, off
.LBB19_1796:
	s_mov_b64 s[0:1], 0
	s_branch .LBB19_1844
.LBB19_1797:
	s_mov_b64 s[0:1], 0
                                        ; implicit-def: $vgpr0_vgpr1
                                        ; implicit-def: $sgpr14
                                        ; implicit-def: $vgpr7
.LBB19_1798:
	s_mov_b64 s[4:5], 0
.LBB19_1799:
	s_and_b64 s[6:7], s[4:5], exec
	s_andn2_b64 s[4:5], s[28:29], exec
	s_and_b64 s[2:3], s[2:3], exec
	s_and_b64 s[0:1], s[0:1], exec
	s_or_b64 s[28:29], s[4:5], s[2:3]
.LBB19_1800:
	s_or_b64 exec, exec, s[30:31]
	s_and_saveexec_b64 s[2:3], s[28:29]
	s_cbranch_execz .LBB19_1803
; %bb.1801:
	; divergent unreachable
	s_or_b64 exec, exec, s[2:3]
	s_and_saveexec_b64 s[2:3], s[6:7]
	s_xor_b64 s[2:3], exec, s[2:3]
	s_cbranch_execnz .LBB19_1804
.LBB19_1802:
	s_or_b64 exec, exec, s[2:3]
	s_and_saveexec_b64 s[2:3], s[0:1]
	s_cbranch_execnz .LBB19_1805
	s_branch .LBB19_1842
.LBB19_1803:
	s_or_b64 exec, exec, s[2:3]
	s_and_saveexec_b64 s[2:3], s[6:7]
	s_xor_b64 s[2:3], exec, s[2:3]
	s_cbranch_execz .LBB19_1802
.LBB19_1804:
	v_cmp_neq_f32_e32 vcc, 0, v7
	v_cndmask_b32_e64 v2, 0, 1, vcc
	s_waitcnt vmcnt(0)
	global_store_byte v[0:1], v2, off
	s_or_b64 exec, exec, s[2:3]
	s_and_saveexec_b64 s[2:3], s[0:1]
	s_cbranch_execz .LBB19_1842
.LBB19_1805:
	s_sext_i32_i16 s2, s14
	s_cmp_lt_i32 s2, 5
	s_mov_b64 s[0:1], -1
	s_cbranch_scc1 .LBB19_1826
; %bb.1806:
	s_cmp_lt_i32 s2, 8
	s_cbranch_scc1 .LBB19_1816
; %bb.1807:
	s_cmp_lt_i32 s2, 9
	s_cbranch_scc1 .LBB19_1813
; %bb.1808:
	s_cmp_gt_i32 s2, 9
	s_cbranch_scc0 .LBB19_1810
; %bb.1809:
	s_waitcnt vmcnt(0)
	v_cvt_f64_f32_e32 v[2:3], v7
	v_mov_b32_e32 v4, 0
	v_mov_b32_e32 v5, v4
	s_mov_b64 s[0:1], 0
	global_store_dwordx4 v[0:1], v[2:5], off
.LBB19_1810:
	s_andn2_b64 vcc, exec, s[0:1]
	s_cbranch_vccnz .LBB19_1812
; %bb.1811:
	v_mov_b32_e32 v8, 0
	s_waitcnt vmcnt(0)
	global_store_dwordx2 v[0:1], v[7:8], off
.LBB19_1812:
	s_mov_b64 s[0:1], 0
.LBB19_1813:
	s_andn2_b64 vcc, exec, s[0:1]
	s_cbranch_vccnz .LBB19_1815
; %bb.1814:
	v_cvt_f16_f32_e32 v2, v7
	s_waitcnt vmcnt(0)
	global_store_dword v[0:1], v2, off
.LBB19_1815:
	s_mov_b64 s[0:1], 0
.LBB19_1816:
	s_andn2_b64 vcc, exec, s[0:1]
	s_cbranch_vccnz .LBB19_1825
; %bb.1817:
	s_sext_i32_i16 s2, s14
	s_cmp_lt_i32 s2, 6
	s_mov_b64 s[0:1], -1
	s_cbranch_scc1 .LBB19_1823
; %bb.1818:
	s_cmp_gt_i32 s2, 6
	s_cbranch_scc0 .LBB19_1820
; %bb.1819:
	s_waitcnt vmcnt(0)
	v_cvt_f64_f32_e32 v[2:3], v7
	s_mov_b64 s[0:1], 0
	global_store_dwordx2 v[0:1], v[2:3], off
.LBB19_1820:
	s_andn2_b64 vcc, exec, s[0:1]
	s_cbranch_vccnz .LBB19_1822
; %bb.1821:
	s_waitcnt vmcnt(0)
	global_store_dword v[0:1], v7, off
.LBB19_1822:
	s_mov_b64 s[0:1], 0
.LBB19_1823:
	s_andn2_b64 vcc, exec, s[0:1]
	s_cbranch_vccnz .LBB19_1825
; %bb.1824:
	v_cvt_f16_f32_e32 v2, v7
	s_waitcnt vmcnt(0)
	global_store_short v[0:1], v2, off
.LBB19_1825:
	s_mov_b64 s[0:1], 0
.LBB19_1826:
	s_andn2_b64 vcc, exec, s[0:1]
	s_cbranch_vccnz .LBB19_1842
; %bb.1827:
	s_sext_i32_i16 s2, s14
	s_cmp_lt_i32 s2, 2
	s_mov_b64 s[0:1], -1
	s_cbranch_scc1 .LBB19_1837
; %bb.1828:
	s_cmp_lt_i32 s2, 3
	s_cbranch_scc1 .LBB19_1834
; %bb.1829:
	s_cmp_gt_i32 s2, 3
	s_cbranch_scc0 .LBB19_1831
; %bb.1830:
	v_trunc_f32_e32 v2, v7
	s_mov_b32 s0, 0x2f800000
	s_waitcnt vmcnt(0)
	v_mul_f32_e64 v3, |v2|, s0
	v_floor_f32_e32 v3, v3
	s_mov_b32 s0, 0xcf800000
	v_cvt_u32_f32_e32 v4, v3
	v_fma_f32 v3, v3, s0, |v2|
	v_cvt_u32_f32_e32 v3, v3
	v_ashrrev_i32_e32 v5, 31, v2
	v_xor_b32_e32 v4, v4, v5
	s_mov_b64 s[0:1], 0
	v_xor_b32_e32 v2, v3, v5
	v_sub_co_u32_e32 v2, vcc, v2, v5
	v_subb_co_u32_e32 v3, vcc, v4, v5, vcc
	global_store_dwordx2 v[0:1], v[2:3], off
.LBB19_1831:
	s_andn2_b64 vcc, exec, s[0:1]
	s_cbranch_vccnz .LBB19_1833
; %bb.1832:
	v_cvt_i32_f32_e32 v2, v7
	s_waitcnt vmcnt(0)
	global_store_dword v[0:1], v2, off
.LBB19_1833:
	s_mov_b64 s[0:1], 0
.LBB19_1834:
	s_andn2_b64 vcc, exec, s[0:1]
	s_cbranch_vccnz .LBB19_1836
; %bb.1835:
	v_cvt_i32_f32_e32 v2, v7
	s_waitcnt vmcnt(0)
	global_store_short v[0:1], v2, off
.LBB19_1836:
	s_mov_b64 s[0:1], 0
.LBB19_1837:
	s_andn2_b64 vcc, exec, s[0:1]
	s_cbranch_vccnz .LBB19_1842
; %bb.1838:
	s_sext_i32_i16 s0, s14
	s_cmp_gt_i32 s0, 0
	s_mov_b64 s[0:1], -1
	s_cbranch_scc0 .LBB19_1840
; %bb.1839:
	v_cvt_i32_f32_e32 v2, v7
	s_mov_b64 s[0:1], 0
	s_waitcnt vmcnt(0)
	global_store_byte v[0:1], v2, off
.LBB19_1840:
	s_andn2_b64 vcc, exec, s[0:1]
	s_cbranch_vccnz .LBB19_1842
; %bb.1841:
	v_trunc_f32_e32 v2, v7
	s_mov_b32 s0, 0x2f800000
	s_waitcnt vmcnt(0)
	v_mul_f32_e64 v3, |v2|, s0
	v_floor_f32_e32 v3, v3
	s_mov_b32 s0, 0xcf800000
	v_fma_f32 v3, v3, s0, |v2|
	v_cvt_u32_f32_e32 v3, v3
	v_ashrrev_i32_e32 v2, 31, v2
	v_xor_b32_e32 v3, v3, v2
	v_sub_u32_e32 v2, v3, v2
	global_store_byte v[0:1], v2, off
	s_endpgm
.LBB19_1842:
	s_endpgm
.LBB19_1843:
	s_mov_b64 s[0:1], -1
	s_mov_b64 s[6:7], 0
.LBB19_1844:
	s_and_b64 vcc, exec, s[0:1]
	s_cbranch_vccz .LBB19_1883
; %bb.1845:
	s_and_b32 s4, 0xffff, s14
	s_cmp_lt_i32 s4, 5
	s_mov_b64 s[0:1], -1
	s_cbranch_scc1 .LBB19_1866
; %bb.1846:
	s_cmp_lt_i32 s4, 8
	s_cbranch_scc1 .LBB19_1856
; %bb.1847:
	s_cmp_lt_i32 s4, 9
	s_cbranch_scc1 .LBB19_1853
; %bb.1848:
	s_cmp_gt_i32 s4, 9
	s_cbranch_scc0 .LBB19_1850
; %bb.1849:
	v_cvt_f64_f32_e32 v[10:11], v5
	v_mov_b32_e32 v12, 0
	v_mov_b32_e32 v13, v12
	s_mov_b64 s[0:1], 0
	global_store_dwordx4 v[8:9], v[10:13], off
.LBB19_1850:
	s_andn2_b64 vcc, exec, s[0:1]
	s_cbranch_vccnz .LBB19_1852
; %bb.1851:
	v_mov_b32_e32 v6, 0
	global_store_dwordx2 v[8:9], v[5:6], off
.LBB19_1852:
	s_mov_b64 s[0:1], 0
.LBB19_1853:
	s_andn2_b64 vcc, exec, s[0:1]
	s_cbranch_vccnz .LBB19_1855
; %bb.1854:
	v_cvt_f16_f32_e32 v6, v5
	global_store_dword v[8:9], v6, off
.LBB19_1855:
	s_mov_b64 s[0:1], 0
.LBB19_1856:
	s_andn2_b64 vcc, exec, s[0:1]
	s_cbranch_vccnz .LBB19_1865
; %bb.1857:
	s_cmp_lt_i32 s4, 6
	s_mov_b64 s[0:1], -1
	s_cbranch_scc1 .LBB19_1863
; %bb.1858:
	s_cmp_gt_i32 s4, 6
	s_cbranch_scc0 .LBB19_1860
; %bb.1859:
	v_cvt_f64_f32_e32 v[10:11], v5
	s_mov_b64 s[0:1], 0
	global_store_dwordx2 v[8:9], v[10:11], off
.LBB19_1860:
	s_andn2_b64 vcc, exec, s[0:1]
	s_cbranch_vccnz .LBB19_1862
; %bb.1861:
	global_store_dword v[8:9], v5, off
.LBB19_1862:
	s_mov_b64 s[0:1], 0
.LBB19_1863:
	s_andn2_b64 vcc, exec, s[0:1]
	s_cbranch_vccnz .LBB19_1865
; %bb.1864:
	v_cvt_f16_f32_e32 v6, v5
	global_store_short v[8:9], v6, off
.LBB19_1865:
	s_mov_b64 s[0:1], 0
.LBB19_1866:
	s_andn2_b64 vcc, exec, s[0:1]
	s_cbranch_vccnz .LBB19_1882
; %bb.1867:
	s_cmp_lt_i32 s4, 2
	s_mov_b64 s[0:1], -1
	s_cbranch_scc1 .LBB19_1877
; %bb.1868:
	s_cmp_lt_i32 s4, 3
	s_cbranch_scc1 .LBB19_1874
; %bb.1869:
	s_cmp_gt_i32 s4, 3
	s_cbranch_scc0 .LBB19_1871
; %bb.1870:
	v_trunc_f32_e32 v6, v5
	s_mov_b32 s0, 0x2f800000
	v_mul_f32_e64 v10, |v6|, s0
	v_floor_f32_e32 v10, v10
	s_mov_b32 s0, 0xcf800000
	v_cvt_u32_f32_e32 v11, v10
	v_fma_f32 v10, v10, s0, |v6|
	v_cvt_u32_f32_e32 v10, v10
	v_ashrrev_i32_e32 v6, 31, v6
	v_xor_b32_e32 v11, v11, v6
	s_mov_b64 s[0:1], 0
	v_xor_b32_e32 v10, v10, v6
	v_sub_co_u32_e32 v10, vcc, v10, v6
	v_subb_co_u32_e32 v11, vcc, v11, v6, vcc
	global_store_dwordx2 v[8:9], v[10:11], off
.LBB19_1871:
	s_andn2_b64 vcc, exec, s[0:1]
	s_cbranch_vccnz .LBB19_1873
; %bb.1872:
	v_cvt_i32_f32_e32 v6, v5
	global_store_dword v[8:9], v6, off
.LBB19_1873:
	s_mov_b64 s[0:1], 0
.LBB19_1874:
	s_andn2_b64 vcc, exec, s[0:1]
	s_cbranch_vccnz .LBB19_1876
; %bb.1875:
	v_cvt_i32_f32_e32 v6, v5
	global_store_short v[8:9], v6, off
.LBB19_1876:
	s_mov_b64 s[0:1], 0
.LBB19_1877:
	s_andn2_b64 vcc, exec, s[0:1]
	s_cbranch_vccnz .LBB19_1882
; %bb.1878:
	s_cmp_gt_i32 s4, 0
	s_mov_b64 s[0:1], -1
	s_cbranch_scc0 .LBB19_1880
; %bb.1879:
	v_cvt_i32_f32_e32 v6, v5
	s_mov_b64 s[0:1], 0
	global_store_byte v[8:9], v6, off
.LBB19_1880:
	s_andn2_b64 vcc, exec, s[0:1]
	s_cbranch_vccnz .LBB19_1882
; %bb.1881:
	v_trunc_f32_e32 v5, v5
	s_mov_b32 s0, 0x2f800000
	v_mul_f32_e64 v6, |v5|, s0
	v_floor_f32_e32 v6, v6
	s_mov_b32 s0, 0xcf800000
	v_fma_f32 v6, v6, s0, |v5|
	v_cvt_u32_f32_e32 v6, v6
	v_ashrrev_i32_e32 v5, 31, v5
	v_xor_b32_e32 v6, v6, v5
	v_sub_u32_e32 v5, v6, v5
	global_store_byte v[8:9], v5, off
.LBB19_1882:
	s_mov_b64 s[6:7], -1
.LBB19_1883:
	s_andn2_b64 vcc, exec, s[6:7]
	s_cbranch_vccnz .LBB19_2198
; %bb.1884:
	s_lshr_b32 s0, s16, 8
	s_and_b32 s14, s0, 0xff
	v_mov_b32_e32 v6, s9
	v_add_co_u32_e32 v5, vcc, s8, v4
	s_cmp_lt_i32 s14, 11
	v_addc_co_u32_e32 v6, vcc, 0, v6, vcc
	s_cbranch_scc1 .LBB19_1962
; %bb.1885:
	s_and_b32 s15, 0xffff, s14
	s_mov_b64 s[10:11], -1
	s_mov_b64 s[4:5], 0
	s_cmp_gt_i32 s15, 25
	s_mov_b64 s[6:7], 0
	s_mov_b64 s[0:1], 0
	s_cbranch_scc0 .LBB19_1918
; %bb.1886:
	s_cmp_gt_i32 s15, 28
	s_cbranch_scc0 .LBB19_1901
; %bb.1887:
	s_cmp_gt_i32 s15, 43
	;; [unrolled: 3-line block ×3, first 2 shown]
	s_cbranch_scc0 .LBB19_1891
; %bb.1889:
	s_mov_b64 s[0:1], -1
	s_mov_b64 s[10:11], 0
	s_cmp_eq_u32 s15, 46
	s_cbranch_scc0 .LBB19_1891
; %bb.1890:
	v_bfe_u32 v4, v3, 16, 1
	s_movk_i32 s0, 0x7fff
	v_add3_u32 v4, v3, v4, s0
	v_cmp_o_f32_e32 vcc, v3, v3
	v_mov_b32_e32 v8, 0x7fc0
	v_cndmask_b32_sdwa v4, v8, v4, vcc dst_sel:DWORD dst_unused:UNUSED_PAD src0_sel:DWORD src1_sel:WORD_1
	global_store_dword v[5:6], v4, off
	s_mov_b64 s[0:1], 0
	s_mov_b64 s[6:7], -1
.LBB19_1891:
	s_and_b64 vcc, exec, s[10:11]
	s_cbranch_vccz .LBB19_1896
; %bb.1892:
	s_cmp_eq_u32 s15, 44
	s_mov_b64 s[0:1], -1
	s_cbranch_scc0 .LBB19_1896
; %bb.1893:
	v_bfe_u32 v4, v3, 23, 8
	s_movk_i32 s0, 0xff
	v_cmp_ne_u32_e32 vcc, s0, v4
	v_mov_b32_e32 v8, 0xff
	s_and_saveexec_b64 s[6:7], vcc
; %bb.1894:
	s_mov_b32 s0, 0x3fffff
	v_and_b32_e32 v9, 0x400000, v3
	v_and_or_b32 v4, v3, s0, v4
	v_cmp_ne_u32_e32 vcc, 0, v9
	v_cmp_ne_u32_e64 s[0:1], 0, v4
	s_and_b64 s[0:1], vcc, s[0:1]
	v_lshrrev_b32_e32 v8, 23, v3
	v_cndmask_b32_e64 v4, 0, 1, s[0:1]
	v_add_u32_e32 v8, v8, v4
; %bb.1895:
	s_or_b64 exec, exec, s[6:7]
	s_mov_b64 s[0:1], 0
	s_mov_b64 s[6:7], -1
	global_store_byte v[5:6], v8, off
.LBB19_1896:
	s_mov_b64 s[10:11], 0
.LBB19_1897:
	s_and_b64 vcc, exec, s[10:11]
	s_cbranch_vccz .LBB19_1900
; %bb.1898:
	s_cmp_eq_u32 s15, 29
	s_mov_b64 s[0:1], -1
	s_cbranch_scc0 .LBB19_1900
; %bb.1899:
	v_trunc_f32_e32 v4, v3
	v_mul_f32_e32 v8, 0x2f800000, v4
	v_floor_f32_e32 v8, v8
	v_fmac_f32_e32 v4, 0xcf800000, v8
	v_cvt_u32_f32_e32 v9, v8
	v_cvt_u32_f32_e32 v8, v4
	s_mov_b64 s[0:1], 0
	s_mov_b64 s[6:7], -1
	global_store_dwordx2 v[5:6], v[8:9], off
.LBB19_1900:
	s_mov_b64 s[10:11], 0
.LBB19_1901:
	s_and_b64 vcc, exec, s[10:11]
	s_cbranch_vccz .LBB19_1917
; %bb.1902:
	s_cmp_lt_i32 s15, 27
	s_mov_b64 s[6:7], -1
	s_cbranch_scc1 .LBB19_1908
; %bb.1903:
	s_cmp_gt_i32 s15, 27
	s_cbranch_scc0 .LBB19_1905
; %bb.1904:
	v_cvt_u32_f32_e32 v4, v3
	s_mov_b64 s[6:7], 0
	global_store_dword v[5:6], v4, off
.LBB19_1905:
	s_andn2_b64 vcc, exec, s[6:7]
	s_cbranch_vccnz .LBB19_1907
; %bb.1906:
	v_cvt_u32_f32_e32 v4, v3
	global_store_short v[5:6], v4, off
.LBB19_1907:
	s_mov_b64 s[6:7], 0
.LBB19_1908:
	s_andn2_b64 vcc, exec, s[6:7]
	s_cbranch_vccnz .LBB19_1916
; %bb.1909:
	v_and_b32_e32 v4, 0x7fffffff, v3
	s_mov_b32 s6, 0x43800000
	v_cmp_gt_u32_e32 vcc, s6, v4
	v_mov_b32_e32 v8, 0x80
	s_and_saveexec_b64 s[6:7], vcc
	s_cbranch_execz .LBB19_1915
; %bb.1910:
	s_mov_b32 s10, 0x3bffffff
	v_cmp_lt_u32_e32 vcc, s10, v4
	s_mov_b64 s[10:11], 0
                                        ; implicit-def: $vgpr4
	s_and_saveexec_b64 s[12:13], vcc
	s_xor_b64 s[12:13], exec, s[12:13]
	s_cbranch_execz .LBB19_2206
; %bb.1911:
	v_bfe_u32 v4, v3, 20, 1
	s_mov_b32 s16, 0x487ffff
	v_add3_u32 v4, v3, v4, s16
	s_mov_b64 s[10:11], exec
	v_lshrrev_b32_e32 v4, 20, v4
	s_andn2_saveexec_b64 s[12:13], s[12:13]
	s_cbranch_execnz .LBB19_2207
.LBB19_1912:
	s_or_b64 exec, exec, s[12:13]
	v_mov_b32_e32 v8, 0
	s_and_saveexec_b64 s[12:13], s[10:11]
.LBB19_1913:
	v_lshrrev_b32_e32 v8, 24, v3
	s_movk_i32 s10, 0x80
	v_and_or_b32 v8, v8, s10, v4
.LBB19_1914:
	s_or_b64 exec, exec, s[12:13]
.LBB19_1915:
	s_or_b64 exec, exec, s[6:7]
	global_store_byte v[5:6], v8, off
.LBB19_1916:
	s_mov_b64 s[6:7], -1
.LBB19_1917:
	s_mov_b64 s[10:11], 0
.LBB19_1918:
	s_and_b64 vcc, exec, s[10:11]
	s_cbranch_vccz .LBB19_1958
; %bb.1919:
	s_cmp_gt_i32 s15, 22
	s_mov_b64 s[4:5], -1
	s_cbranch_scc0 .LBB19_1951
; %bb.1920:
	s_cmp_lt_i32 s15, 24
	s_cbranch_scc1 .LBB19_1940
; %bb.1921:
	s_cmp_gt_i32 s15, 24
	s_cbranch_scc0 .LBB19_1929
; %bb.1922:
	v_and_b32_e32 v4, 0x7fffffff, v3
	s_mov_b32 s4, 0x47800000
	v_cmp_gt_u32_e32 vcc, s4, v4
	v_mov_b32_e32 v8, 0x80
	s_and_saveexec_b64 s[4:5], vcc
	s_cbranch_execz .LBB19_1928
; %bb.1923:
	s_mov_b32 s6, 0x37ffffff
	v_cmp_lt_u32_e32 vcc, s6, v4
	s_mov_b64 s[6:7], 0
                                        ; implicit-def: $vgpr4
	s_and_saveexec_b64 s[10:11], vcc
	s_xor_b64 s[10:11], exec, s[10:11]
	s_cbranch_execz .LBB19_2209
; %bb.1924:
	v_bfe_u32 v4, v3, 21, 1
	s_mov_b32 s12, 0x88fffff
	v_add3_u32 v4, v3, v4, s12
	s_mov_b64 s[6:7], exec
	v_lshrrev_b32_e32 v4, 21, v4
	s_andn2_saveexec_b64 s[10:11], s[10:11]
	s_cbranch_execnz .LBB19_2210
.LBB19_1925:
	s_or_b64 exec, exec, s[10:11]
	v_mov_b32_e32 v8, 0
	s_and_saveexec_b64 s[10:11], s[6:7]
.LBB19_1926:
	v_lshrrev_b32_e32 v8, 24, v3
	s_movk_i32 s6, 0x80
	v_and_or_b32 v8, v8, s6, v4
.LBB19_1927:
	s_or_b64 exec, exec, s[10:11]
.LBB19_1928:
	s_or_b64 exec, exec, s[4:5]
	s_mov_b64 s[4:5], 0
	global_store_byte v[5:6], v8, off
.LBB19_1929:
	s_and_b64 vcc, exec, s[4:5]
	s_cbranch_vccz .LBB19_1939
; %bb.1930:
	v_and_b32_e32 v8, 0x7fffffff, v3
	s_mov_b32 s4, 0x43f00000
	v_cmp_gt_u32_e32 vcc, s4, v8
                                        ; implicit-def: $vgpr4
	s_and_saveexec_b64 s[4:5], vcc
	s_xor_b64 s[4:5], exec, s[4:5]
	s_cbranch_execz .LBB19_1936
; %bb.1931:
	s_mov_b32 s6, 0x3c7fffff
	v_cmp_lt_u32_e32 vcc, s6, v8
                                        ; implicit-def: $vgpr4
	s_and_saveexec_b64 s[6:7], vcc
	s_xor_b64 s[6:7], exec, s[6:7]
; %bb.1932:
	v_bfe_u32 v4, v3, 20, 1
	s_mov_b32 s10, 0x407ffff
	v_add3_u32 v4, v3, v4, s10
	v_lshrrev_b32_e32 v8, 20, v4
	v_and_b32_e32 v4, 0xff00000, v4
	s_mov_b32 s10, 0x7f00000
	v_mov_b32_e32 v9, 0x7e
	v_cmp_ne_u32_e32 vcc, s10, v4
	v_cndmask_b32_e32 v4, v9, v8, vcc
; %bb.1933:
	s_andn2_saveexec_b64 s[6:7], s[6:7]
; %bb.1934:
	s_mov_b32 s10, 0x46800000
	v_add_f32_e64 v4, |v3|, s10
; %bb.1935:
	s_or_b64 exec, exec, s[6:7]
                                        ; implicit-def: $vgpr8
.LBB19_1936:
	s_andn2_saveexec_b64 s[4:5], s[4:5]
; %bb.1937:
	s_mov_b32 s6, 0x7f800000
	v_mov_b32_e32 v4, 0x7e
	v_mov_b32_e32 v9, 0x7f
	v_cmp_lt_u32_e32 vcc, s6, v8
	v_cndmask_b32_e32 v4, v4, v9, vcc
; %bb.1938:
	s_or_b64 exec, exec, s[4:5]
	v_lshrrev_b32_e32 v8, 24, v3
	s_movk_i32 s4, 0x80
	v_and_or_b32 v4, v8, s4, v4
	global_store_byte v[5:6], v4, off
.LBB19_1939:
	s_mov_b64 s[4:5], 0
.LBB19_1940:
	s_andn2_b64 vcc, exec, s[4:5]
	s_cbranch_vccnz .LBB19_1950
; %bb.1941:
	v_and_b32_e32 v8, 0x7fffffff, v3
	s_mov_b32 s4, 0x47800000
	v_cmp_gt_u32_e32 vcc, s4, v8
                                        ; implicit-def: $vgpr4
	s_and_saveexec_b64 s[4:5], vcc
	s_xor_b64 s[4:5], exec, s[4:5]
	s_cbranch_execz .LBB19_1947
; %bb.1942:
	s_mov_b32 s6, 0x387fffff
	v_cmp_lt_u32_e32 vcc, s6, v8
                                        ; implicit-def: $vgpr4
	s_and_saveexec_b64 s[6:7], vcc
	s_xor_b64 s[6:7], exec, s[6:7]
; %bb.1943:
	v_bfe_u32 v4, v3, 21, 1
	s_mov_b32 s10, 0x80fffff
	v_add3_u32 v4, v3, v4, s10
	v_lshrrev_b32_e32 v4, 21, v4
; %bb.1944:
	s_andn2_saveexec_b64 s[6:7], s[6:7]
; %bb.1945:
	s_mov_b32 s10, 0x43000000
	v_add_f32_e64 v4, |v3|, s10
; %bb.1946:
	s_or_b64 exec, exec, s[6:7]
                                        ; implicit-def: $vgpr8
.LBB19_1947:
	s_andn2_saveexec_b64 s[4:5], s[4:5]
; %bb.1948:
	s_mov_b32 s6, 0x7f800000
	v_mov_b32_e32 v4, 0x7c
	v_mov_b32_e32 v9, 0x7f
	v_cmp_lt_u32_e32 vcc, s6, v8
	v_cndmask_b32_e32 v4, v4, v9, vcc
; %bb.1949:
	s_or_b64 exec, exec, s[4:5]
	v_lshrrev_b32_e32 v8, 24, v3
	s_movk_i32 s4, 0x80
	v_and_or_b32 v4, v8, s4, v4
	global_store_byte v[5:6], v4, off
.LBB19_1950:
	s_mov_b64 s[4:5], 0
	s_mov_b64 s[6:7], -1
.LBB19_1951:
	s_andn2_b64 vcc, exec, s[4:5]
	s_mov_b64 s[4:5], 0
	s_cbranch_vccnz .LBB19_1958
; %bb.1952:
	s_cmp_gt_i32 s15, 14
	s_mov_b64 s[10:11], -1
	s_cbranch_scc0 .LBB19_1956
; %bb.1953:
	s_cmp_eq_u32 s15, 15
	s_mov_b64 s[0:1], -1
	s_cbranch_scc0 .LBB19_1955
; %bb.1954:
	v_bfe_u32 v4, v3, 16, 1
	s_movk_i32 s0, 0x7fff
	v_add3_u32 v4, v3, v4, s0
	v_cmp_o_f32_e32 vcc, v3, v3
	v_mov_b32_e32 v8, 0x7fc0
	v_cndmask_b32_sdwa v4, v8, v4, vcc dst_sel:DWORD dst_unused:UNUSED_PAD src0_sel:DWORD src1_sel:WORD_1
	global_store_short v[5:6], v4, off
	s_mov_b64 s[0:1], 0
	s_mov_b64 s[6:7], -1
.LBB19_1955:
	s_mov_b64 s[10:11], 0
.LBB19_1956:
	s_and_b64 vcc, exec, s[10:11]
	s_cbranch_vccz .LBB19_1958
; %bb.1957:
	s_cmp_lg_u32 s15, 11
	s_mov_b64 s[4:5], -1
	s_cselect_b64 s[0:1], -1, 0
.LBB19_1958:
	s_and_b64 vcc, exec, s[0:1]
	s_cbranch_vccnz .LBB19_2208
; %bb.1959:
	s_andn2_b64 vcc, exec, s[4:5]
	s_cbranch_vccnz .LBB19_1961
.LBB19_1960:
	v_cmp_neq_f32_e32 vcc, 0, v3
	v_cndmask_b32_e64 v4, 0, 1, vcc
	s_mov_b64 s[6:7], -1
	global_store_byte v[5:6], v4, off
.LBB19_1961:
	s_mov_b64 s[0:1], 0
	s_branch .LBB19_1963
.LBB19_1962:
	s_mov_b64 s[0:1], -1
	s_mov_b64 s[6:7], 0
.LBB19_1963:
	s_and_b64 vcc, exec, s[0:1]
	s_cbranch_vccz .LBB19_2002
; %bb.1964:
	s_and_b32 s4, 0xffff, s14
	s_cmp_lt_i32 s4, 5
	s_mov_b64 s[0:1], -1
	s_cbranch_scc1 .LBB19_1985
; %bb.1965:
	s_cmp_lt_i32 s4, 8
	s_cbranch_scc1 .LBB19_1975
; %bb.1966:
	s_cmp_lt_i32 s4, 9
	s_cbranch_scc1 .LBB19_1972
; %bb.1967:
	s_cmp_gt_i32 s4, 9
	s_cbranch_scc0 .LBB19_1969
; %bb.1968:
	v_cvt_f64_f32_e32 v[8:9], v3
	v_mov_b32_e32 v10, 0
	v_mov_b32_e32 v11, v10
	s_mov_b64 s[0:1], 0
	global_store_dwordx4 v[5:6], v[8:11], off
.LBB19_1969:
	s_andn2_b64 vcc, exec, s[0:1]
	s_cbranch_vccnz .LBB19_1971
; %bb.1970:
	v_mov_b32_e32 v4, 0
	global_store_dwordx2 v[5:6], v[3:4], off
.LBB19_1971:
	s_mov_b64 s[0:1], 0
.LBB19_1972:
	s_andn2_b64 vcc, exec, s[0:1]
	s_cbranch_vccnz .LBB19_1974
; %bb.1973:
	v_cvt_f16_f32_e32 v4, v3
	global_store_dword v[5:6], v4, off
.LBB19_1974:
	s_mov_b64 s[0:1], 0
.LBB19_1975:
	s_andn2_b64 vcc, exec, s[0:1]
	s_cbranch_vccnz .LBB19_1984
; %bb.1976:
	s_cmp_lt_i32 s4, 6
	s_mov_b64 s[0:1], -1
	s_cbranch_scc1 .LBB19_1982
; %bb.1977:
	s_cmp_gt_i32 s4, 6
	s_cbranch_scc0 .LBB19_1979
; %bb.1978:
	v_cvt_f64_f32_e32 v[8:9], v3
	s_mov_b64 s[0:1], 0
	global_store_dwordx2 v[5:6], v[8:9], off
.LBB19_1979:
	s_andn2_b64 vcc, exec, s[0:1]
	s_cbranch_vccnz .LBB19_1981
; %bb.1980:
	global_store_dword v[5:6], v3, off
.LBB19_1981:
	s_mov_b64 s[0:1], 0
.LBB19_1982:
	s_andn2_b64 vcc, exec, s[0:1]
	s_cbranch_vccnz .LBB19_1984
; %bb.1983:
	v_cvt_f16_f32_e32 v4, v3
	global_store_short v[5:6], v4, off
.LBB19_1984:
	s_mov_b64 s[0:1], 0
.LBB19_1985:
	s_andn2_b64 vcc, exec, s[0:1]
	s_cbranch_vccnz .LBB19_2001
; %bb.1986:
	s_cmp_lt_i32 s4, 2
	s_mov_b64 s[0:1], -1
	s_cbranch_scc1 .LBB19_1996
; %bb.1987:
	s_cmp_lt_i32 s4, 3
	s_cbranch_scc1 .LBB19_1993
; %bb.1988:
	s_cmp_gt_i32 s4, 3
	s_cbranch_scc0 .LBB19_1990
; %bb.1989:
	v_trunc_f32_e32 v4, v3
	s_mov_b32 s0, 0x2f800000
	v_mul_f32_e64 v8, |v4|, s0
	v_floor_f32_e32 v8, v8
	s_mov_b32 s0, 0xcf800000
	v_cvt_u32_f32_e32 v9, v8
	v_fma_f32 v8, v8, s0, |v4|
	v_cvt_u32_f32_e32 v8, v8
	v_ashrrev_i32_e32 v4, 31, v4
	v_xor_b32_e32 v9, v9, v4
	s_mov_b64 s[0:1], 0
	v_xor_b32_e32 v8, v8, v4
	v_sub_co_u32_e32 v8, vcc, v8, v4
	v_subb_co_u32_e32 v9, vcc, v9, v4, vcc
	global_store_dwordx2 v[5:6], v[8:9], off
.LBB19_1990:
	s_andn2_b64 vcc, exec, s[0:1]
	s_cbranch_vccnz .LBB19_1992
; %bb.1991:
	v_cvt_i32_f32_e32 v4, v3
	global_store_dword v[5:6], v4, off
.LBB19_1992:
	s_mov_b64 s[0:1], 0
.LBB19_1993:
	s_andn2_b64 vcc, exec, s[0:1]
	s_cbranch_vccnz .LBB19_1995
; %bb.1994:
	v_cvt_i32_f32_e32 v4, v3
	global_store_short v[5:6], v4, off
.LBB19_1995:
	s_mov_b64 s[0:1], 0
.LBB19_1996:
	s_andn2_b64 vcc, exec, s[0:1]
	s_cbranch_vccnz .LBB19_2001
; %bb.1997:
	s_cmp_gt_i32 s4, 0
	s_mov_b64 s[0:1], -1
	s_cbranch_scc0 .LBB19_1999
; %bb.1998:
	v_cvt_i32_f32_e32 v4, v3
	s_mov_b64 s[0:1], 0
	global_store_byte v[5:6], v4, off
.LBB19_1999:
	s_andn2_b64 vcc, exec, s[0:1]
	s_cbranch_vccnz .LBB19_2001
; %bb.2000:
	v_trunc_f32_e32 v3, v3
	s_mov_b32 s0, 0x2f800000
	v_mul_f32_e64 v4, |v3|, s0
	v_floor_f32_e32 v4, v4
	s_mov_b32 s0, 0xcf800000
	v_fma_f32 v4, v4, s0, |v3|
	v_cvt_u32_f32_e32 v4, v4
	v_ashrrev_i32_e32 v3, 31, v3
	v_xor_b32_e32 v4, v4, v3
	v_sub_u32_e32 v3, v4, v3
	global_store_byte v[5:6], v3, off
.LBB19_2001:
	s_mov_b64 s[6:7], -1
.LBB19_2002:
	s_andn2_b64 vcc, exec, s[6:7]
	s_cbranch_vccnz .LBB19_2198
; %bb.2003:
	v_mov_b32_e32 v4, s9
	v_add_co_u32_e32 v3, vcc, s8, v2
	s_cmp_lt_i32 s14, 11
	v_addc_co_u32_e32 v4, vcc, 0, v4, vcc
	s_cbranch_scc1 .LBB19_2081
; %bb.2004:
	s_and_b32 s15, 0xffff, s14
	s_mov_b64 s[10:11], -1
	s_mov_b64 s[4:5], 0
	s_cmp_gt_i32 s15, 25
	s_mov_b64 s[6:7], 0
	s_mov_b64 s[0:1], 0
	s_cbranch_scc0 .LBB19_2037
; %bb.2005:
	s_cmp_gt_i32 s15, 28
	s_cbranch_scc0 .LBB19_2020
; %bb.2006:
	s_cmp_gt_i32 s15, 43
	;; [unrolled: 3-line block ×3, first 2 shown]
	s_cbranch_scc0 .LBB19_2010
; %bb.2008:
	s_mov_b64 s[0:1], -1
	s_mov_b64 s[10:11], 0
	s_cmp_eq_u32 s15, 46
	s_cbranch_scc0 .LBB19_2010
; %bb.2009:
	v_bfe_u32 v2, v1, 16, 1
	s_movk_i32 s0, 0x7fff
	v_add3_u32 v2, v1, v2, s0
	v_cmp_o_f32_e32 vcc, v1, v1
	v_mov_b32_e32 v5, 0x7fc0
	v_cndmask_b32_sdwa v2, v5, v2, vcc dst_sel:DWORD dst_unused:UNUSED_PAD src0_sel:DWORD src1_sel:WORD_1
	global_store_dword v[3:4], v2, off
	s_mov_b64 s[0:1], 0
	s_mov_b64 s[6:7], -1
.LBB19_2010:
	s_and_b64 vcc, exec, s[10:11]
	s_cbranch_vccz .LBB19_2015
; %bb.2011:
	s_cmp_eq_u32 s15, 44
	s_mov_b64 s[0:1], -1
	s_cbranch_scc0 .LBB19_2015
; %bb.2012:
	v_bfe_u32 v2, v1, 23, 8
	s_movk_i32 s0, 0xff
	v_cmp_ne_u32_e32 vcc, s0, v2
	v_mov_b32_e32 v5, 0xff
	s_and_saveexec_b64 s[6:7], vcc
; %bb.2013:
	s_mov_b32 s0, 0x3fffff
	v_and_b32_e32 v6, 0x400000, v1
	v_and_or_b32 v2, v1, s0, v2
	v_cmp_ne_u32_e32 vcc, 0, v6
	v_cmp_ne_u32_e64 s[0:1], 0, v2
	s_and_b64 s[0:1], vcc, s[0:1]
	v_lshrrev_b32_e32 v5, 23, v1
	v_cndmask_b32_e64 v2, 0, 1, s[0:1]
	v_add_u32_e32 v5, v5, v2
; %bb.2014:
	s_or_b64 exec, exec, s[6:7]
	s_mov_b64 s[0:1], 0
	s_mov_b64 s[6:7], -1
	global_store_byte v[3:4], v5, off
.LBB19_2015:
	s_mov_b64 s[10:11], 0
.LBB19_2016:
	s_and_b64 vcc, exec, s[10:11]
	s_cbranch_vccz .LBB19_2019
; %bb.2017:
	s_cmp_eq_u32 s15, 29
	s_mov_b64 s[0:1], -1
	s_cbranch_scc0 .LBB19_2019
; %bb.2018:
	v_trunc_f32_e32 v2, v1
	v_mul_f32_e32 v5, 0x2f800000, v2
	v_floor_f32_e32 v5, v5
	v_fmac_f32_e32 v2, 0xcf800000, v5
	v_cvt_u32_f32_e32 v6, v5
	v_cvt_u32_f32_e32 v5, v2
	s_mov_b64 s[0:1], 0
	s_mov_b64 s[6:7], -1
	global_store_dwordx2 v[3:4], v[5:6], off
.LBB19_2019:
	s_mov_b64 s[10:11], 0
.LBB19_2020:
	s_and_b64 vcc, exec, s[10:11]
	s_cbranch_vccz .LBB19_2036
; %bb.2021:
	s_cmp_lt_i32 s15, 27
	s_mov_b64 s[6:7], -1
	s_cbranch_scc1 .LBB19_2027
; %bb.2022:
	v_cvt_u32_f32_e32 v2, v1
	s_cmp_gt_i32 s15, 27
	s_cbranch_scc0 .LBB19_2024
; %bb.2023:
	s_mov_b64 s[6:7], 0
	global_store_dword v[3:4], v2, off
.LBB19_2024:
	s_andn2_b64 vcc, exec, s[6:7]
	s_cbranch_vccnz .LBB19_2026
; %bb.2025:
	global_store_short v[3:4], v2, off
.LBB19_2026:
	s_mov_b64 s[6:7], 0
.LBB19_2027:
	s_andn2_b64 vcc, exec, s[6:7]
	s_cbranch_vccnz .LBB19_2035
; %bb.2028:
	v_and_b32_e32 v2, 0x7fffffff, v1
	s_mov_b32 s6, 0x43800000
	v_cmp_gt_u32_e32 vcc, s6, v2
	v_mov_b32_e32 v5, 0x80
	s_and_saveexec_b64 s[6:7], vcc
	s_cbranch_execz .LBB19_2034
; %bb.2029:
	s_mov_b32 s10, 0x3bffffff
	v_cmp_lt_u32_e32 vcc, s10, v2
	s_mov_b64 s[10:11], 0
                                        ; implicit-def: $vgpr2
	s_and_saveexec_b64 s[12:13], vcc
	s_xor_b64 s[12:13], exec, s[12:13]
	s_cbranch_execz .LBB19_2211
; %bb.2030:
	v_bfe_u32 v2, v1, 20, 1
	s_mov_b32 s16, 0x487ffff
	v_add3_u32 v2, v1, v2, s16
	s_mov_b64 s[10:11], exec
	v_lshrrev_b32_e32 v2, 20, v2
	s_andn2_saveexec_b64 s[12:13], s[12:13]
	s_cbranch_execnz .LBB19_2212
.LBB19_2031:
	s_or_b64 exec, exec, s[12:13]
	v_mov_b32_e32 v5, 0
	s_and_saveexec_b64 s[12:13], s[10:11]
.LBB19_2032:
	v_lshrrev_b32_e32 v5, 24, v1
	s_movk_i32 s10, 0x80
	v_and_or_b32 v5, v5, s10, v2
.LBB19_2033:
	s_or_b64 exec, exec, s[12:13]
.LBB19_2034:
	s_or_b64 exec, exec, s[6:7]
	global_store_byte v[3:4], v5, off
.LBB19_2035:
	s_mov_b64 s[6:7], -1
.LBB19_2036:
	s_mov_b64 s[10:11], 0
.LBB19_2037:
	s_and_b64 vcc, exec, s[10:11]
	s_cbranch_vccz .LBB19_2077
; %bb.2038:
	s_cmp_gt_i32 s15, 22
	s_mov_b64 s[4:5], -1
	s_cbranch_scc0 .LBB19_2070
; %bb.2039:
	s_cmp_lt_i32 s15, 24
	s_cbranch_scc1 .LBB19_2059
; %bb.2040:
	s_cmp_gt_i32 s15, 24
	s_cbranch_scc0 .LBB19_2048
; %bb.2041:
	v_and_b32_e32 v2, 0x7fffffff, v1
	s_mov_b32 s4, 0x47800000
	v_cmp_gt_u32_e32 vcc, s4, v2
	v_mov_b32_e32 v5, 0x80
	s_and_saveexec_b64 s[4:5], vcc
	s_cbranch_execz .LBB19_2047
; %bb.2042:
	s_mov_b32 s6, 0x37ffffff
	v_cmp_lt_u32_e32 vcc, s6, v2
	s_mov_b64 s[6:7], 0
                                        ; implicit-def: $vgpr2
	s_and_saveexec_b64 s[10:11], vcc
	s_xor_b64 s[10:11], exec, s[10:11]
	s_cbranch_execz .LBB19_2214
; %bb.2043:
	v_bfe_u32 v2, v1, 21, 1
	s_mov_b32 s12, 0x88fffff
	v_add3_u32 v2, v1, v2, s12
	s_mov_b64 s[6:7], exec
	v_lshrrev_b32_e32 v2, 21, v2
	s_andn2_saveexec_b64 s[10:11], s[10:11]
	s_cbranch_execnz .LBB19_2215
.LBB19_2044:
	s_or_b64 exec, exec, s[10:11]
	v_mov_b32_e32 v5, 0
	s_and_saveexec_b64 s[10:11], s[6:7]
.LBB19_2045:
	v_lshrrev_b32_e32 v5, 24, v1
	s_movk_i32 s6, 0x80
	v_and_or_b32 v5, v5, s6, v2
.LBB19_2046:
	s_or_b64 exec, exec, s[10:11]
.LBB19_2047:
	s_or_b64 exec, exec, s[4:5]
	s_mov_b64 s[4:5], 0
	global_store_byte v[3:4], v5, off
.LBB19_2048:
	s_and_b64 vcc, exec, s[4:5]
	s_cbranch_vccz .LBB19_2058
; %bb.2049:
	v_and_b32_e32 v5, 0x7fffffff, v1
	s_mov_b32 s4, 0x43f00000
	v_cmp_gt_u32_e32 vcc, s4, v5
                                        ; implicit-def: $vgpr2
	s_and_saveexec_b64 s[4:5], vcc
	s_xor_b64 s[4:5], exec, s[4:5]
	s_cbranch_execz .LBB19_2055
; %bb.2050:
	s_mov_b32 s6, 0x3c7fffff
	v_cmp_lt_u32_e32 vcc, s6, v5
                                        ; implicit-def: $vgpr2
	s_and_saveexec_b64 s[6:7], vcc
	s_xor_b64 s[6:7], exec, s[6:7]
; %bb.2051:
	v_bfe_u32 v2, v1, 20, 1
	s_mov_b32 s10, 0x407ffff
	v_add3_u32 v2, v1, v2, s10
	v_lshrrev_b32_e32 v5, 20, v2
	v_and_b32_e32 v2, 0xff00000, v2
	s_mov_b32 s10, 0x7f00000
	v_mov_b32_e32 v6, 0x7e
	v_cmp_ne_u32_e32 vcc, s10, v2
	v_cndmask_b32_e32 v2, v6, v5, vcc
; %bb.2052:
	s_andn2_saveexec_b64 s[6:7], s[6:7]
; %bb.2053:
	s_mov_b32 s10, 0x46800000
	v_add_f32_e64 v2, |v1|, s10
; %bb.2054:
	s_or_b64 exec, exec, s[6:7]
                                        ; implicit-def: $vgpr5
.LBB19_2055:
	s_andn2_saveexec_b64 s[4:5], s[4:5]
; %bb.2056:
	s_mov_b32 s6, 0x7f800000
	v_mov_b32_e32 v2, 0x7e
	v_mov_b32_e32 v6, 0x7f
	v_cmp_lt_u32_e32 vcc, s6, v5
	v_cndmask_b32_e32 v2, v2, v6, vcc
; %bb.2057:
	s_or_b64 exec, exec, s[4:5]
	v_lshrrev_b32_e32 v5, 24, v1
	s_movk_i32 s4, 0x80
	v_and_or_b32 v2, v5, s4, v2
	global_store_byte v[3:4], v2, off
.LBB19_2058:
	s_mov_b64 s[4:5], 0
.LBB19_2059:
	s_andn2_b64 vcc, exec, s[4:5]
	s_cbranch_vccnz .LBB19_2069
; %bb.2060:
	v_and_b32_e32 v5, 0x7fffffff, v1
	s_mov_b32 s4, 0x47800000
	v_cmp_gt_u32_e32 vcc, s4, v5
                                        ; implicit-def: $vgpr2
	s_and_saveexec_b64 s[4:5], vcc
	s_xor_b64 s[4:5], exec, s[4:5]
	s_cbranch_execz .LBB19_2066
; %bb.2061:
	s_mov_b32 s6, 0x387fffff
	v_cmp_lt_u32_e32 vcc, s6, v5
                                        ; implicit-def: $vgpr2
	s_and_saveexec_b64 s[6:7], vcc
	s_xor_b64 s[6:7], exec, s[6:7]
; %bb.2062:
	v_bfe_u32 v2, v1, 21, 1
	s_mov_b32 s10, 0x80fffff
	v_add3_u32 v2, v1, v2, s10
	v_lshrrev_b32_e32 v2, 21, v2
; %bb.2063:
	s_andn2_saveexec_b64 s[6:7], s[6:7]
; %bb.2064:
	s_mov_b32 s10, 0x43000000
	v_add_f32_e64 v2, |v1|, s10
; %bb.2065:
	s_or_b64 exec, exec, s[6:7]
                                        ; implicit-def: $vgpr5
.LBB19_2066:
	s_andn2_saveexec_b64 s[4:5], s[4:5]
; %bb.2067:
	s_mov_b32 s6, 0x7f800000
	v_mov_b32_e32 v2, 0x7c
	v_mov_b32_e32 v6, 0x7f
	v_cmp_lt_u32_e32 vcc, s6, v5
	v_cndmask_b32_e32 v2, v2, v6, vcc
; %bb.2068:
	s_or_b64 exec, exec, s[4:5]
	v_lshrrev_b32_e32 v5, 24, v1
	s_movk_i32 s4, 0x80
	v_and_or_b32 v2, v5, s4, v2
	global_store_byte v[3:4], v2, off
.LBB19_2069:
	s_mov_b64 s[4:5], 0
	s_mov_b64 s[6:7], -1
.LBB19_2070:
	s_andn2_b64 vcc, exec, s[4:5]
	s_mov_b64 s[4:5], 0
	s_cbranch_vccnz .LBB19_2077
; %bb.2071:
	s_cmp_gt_i32 s15, 14
	s_mov_b64 s[10:11], -1
	s_cbranch_scc0 .LBB19_2075
; %bb.2072:
	s_cmp_eq_u32 s15, 15
	s_mov_b64 s[0:1], -1
	s_cbranch_scc0 .LBB19_2074
; %bb.2073:
	v_bfe_u32 v2, v1, 16, 1
	s_movk_i32 s0, 0x7fff
	v_add3_u32 v2, v1, v2, s0
	v_cmp_o_f32_e32 vcc, v1, v1
	v_mov_b32_e32 v5, 0x7fc0
	v_cndmask_b32_sdwa v2, v5, v2, vcc dst_sel:DWORD dst_unused:UNUSED_PAD src0_sel:DWORD src1_sel:WORD_1
	global_store_short v[3:4], v2, off
	s_mov_b64 s[0:1], 0
	s_mov_b64 s[6:7], -1
.LBB19_2074:
	s_mov_b64 s[10:11], 0
.LBB19_2075:
	s_and_b64 vcc, exec, s[10:11]
	s_cbranch_vccz .LBB19_2077
; %bb.2076:
	s_cmp_lg_u32 s15, 11
	s_mov_b64 s[4:5], -1
	s_cselect_b64 s[0:1], -1, 0
.LBB19_2077:
	s_and_b64 vcc, exec, s[0:1]
	s_cbranch_vccnz .LBB19_2213
; %bb.2078:
	s_andn2_b64 vcc, exec, s[4:5]
	s_cbranch_vccnz .LBB19_2080
.LBB19_2079:
	v_cmp_neq_f32_e32 vcc, 0, v1
	v_cndmask_b32_e64 v2, 0, 1, vcc
	s_mov_b64 s[6:7], -1
	global_store_byte v[3:4], v2, off
.LBB19_2080:
	s_mov_b64 s[0:1], 0
	s_branch .LBB19_2082
.LBB19_2081:
	s_mov_b64 s[0:1], -1
	s_mov_b64 s[6:7], 0
.LBB19_2082:
	s_and_b64 vcc, exec, s[0:1]
	s_cbranch_vccz .LBB19_2121
; %bb.2083:
	s_and_b32 s4, 0xffff, s14
	s_cmp_lt_i32 s4, 5
	s_mov_b64 s[0:1], -1
	s_cbranch_scc1 .LBB19_2104
; %bb.2084:
	s_cmp_lt_i32 s4, 8
	s_cbranch_scc1 .LBB19_2094
; %bb.2085:
	s_cmp_lt_i32 s4, 9
	s_cbranch_scc1 .LBB19_2091
; %bb.2086:
	s_cmp_gt_i32 s4, 9
	s_cbranch_scc0 .LBB19_2088
; %bb.2087:
	v_cvt_f64_f32_e32 v[8:9], v1
	v_mov_b32_e32 v10, 0
	v_mov_b32_e32 v11, v10
	s_mov_b64 s[0:1], 0
	global_store_dwordx4 v[3:4], v[8:11], off
.LBB19_2088:
	s_andn2_b64 vcc, exec, s[0:1]
	s_cbranch_vccnz .LBB19_2090
; %bb.2089:
	v_mov_b32_e32 v2, 0
	global_store_dwordx2 v[3:4], v[1:2], off
.LBB19_2090:
	s_mov_b64 s[0:1], 0
.LBB19_2091:
	s_andn2_b64 vcc, exec, s[0:1]
	s_cbranch_vccnz .LBB19_2093
; %bb.2092:
	v_cvt_f16_f32_e32 v2, v1
	global_store_dword v[3:4], v2, off
.LBB19_2093:
	s_mov_b64 s[0:1], 0
.LBB19_2094:
	s_andn2_b64 vcc, exec, s[0:1]
	s_cbranch_vccnz .LBB19_2103
; %bb.2095:
	s_cmp_lt_i32 s4, 6
	s_mov_b64 s[0:1], -1
	s_cbranch_scc1 .LBB19_2101
; %bb.2096:
	s_cmp_gt_i32 s4, 6
	s_cbranch_scc0 .LBB19_2098
; %bb.2097:
	v_cvt_f64_f32_e32 v[5:6], v1
	s_mov_b64 s[0:1], 0
	global_store_dwordx2 v[3:4], v[5:6], off
.LBB19_2098:
	s_andn2_b64 vcc, exec, s[0:1]
	s_cbranch_vccnz .LBB19_2100
; %bb.2099:
	global_store_dword v[3:4], v1, off
.LBB19_2100:
	s_mov_b64 s[0:1], 0
.LBB19_2101:
	s_andn2_b64 vcc, exec, s[0:1]
	s_cbranch_vccnz .LBB19_2103
; %bb.2102:
	v_cvt_f16_f32_e32 v2, v1
	global_store_short v[3:4], v2, off
.LBB19_2103:
	s_mov_b64 s[0:1], 0
.LBB19_2104:
	s_andn2_b64 vcc, exec, s[0:1]
	s_cbranch_vccnz .LBB19_2120
; %bb.2105:
	s_cmp_lt_i32 s4, 2
	s_mov_b64 s[0:1], -1
	s_cbranch_scc1 .LBB19_2115
; %bb.2106:
	s_cmp_lt_i32 s4, 3
	s_cbranch_scc1 .LBB19_2112
; %bb.2107:
	s_cmp_gt_i32 s4, 3
	s_cbranch_scc0 .LBB19_2109
; %bb.2108:
	v_trunc_f32_e32 v2, v1
	s_mov_b32 s0, 0x2f800000
	v_mul_f32_e64 v5, |v2|, s0
	v_floor_f32_e32 v5, v5
	s_mov_b32 s0, 0xcf800000
	v_cvt_u32_f32_e32 v6, v5
	v_fma_f32 v5, v5, s0, |v2|
	v_cvt_u32_f32_e32 v5, v5
	v_ashrrev_i32_e32 v2, 31, v2
	v_xor_b32_e32 v6, v6, v2
	s_mov_b64 s[0:1], 0
	v_xor_b32_e32 v5, v5, v2
	v_sub_co_u32_e32 v5, vcc, v5, v2
	v_subb_co_u32_e32 v6, vcc, v6, v2, vcc
	global_store_dwordx2 v[3:4], v[5:6], off
.LBB19_2109:
	s_andn2_b64 vcc, exec, s[0:1]
	s_cbranch_vccnz .LBB19_2111
; %bb.2110:
	v_cvt_i32_f32_e32 v2, v1
	global_store_dword v[3:4], v2, off
.LBB19_2111:
	s_mov_b64 s[0:1], 0
.LBB19_2112:
	s_andn2_b64 vcc, exec, s[0:1]
	s_cbranch_vccnz .LBB19_2114
; %bb.2113:
	v_cvt_i32_f32_e32 v2, v1
	global_store_short v[3:4], v2, off
.LBB19_2114:
	s_mov_b64 s[0:1], 0
.LBB19_2115:
	s_andn2_b64 vcc, exec, s[0:1]
	s_cbranch_vccnz .LBB19_2120
; %bb.2116:
	s_cmp_gt_i32 s4, 0
	s_mov_b64 s[0:1], -1
	s_cbranch_scc0 .LBB19_2118
; %bb.2117:
	v_cvt_i32_f32_e32 v2, v1
	s_mov_b64 s[0:1], 0
	global_store_byte v[3:4], v2, off
.LBB19_2118:
	s_andn2_b64 vcc, exec, s[0:1]
	s_cbranch_vccnz .LBB19_2120
; %bb.2119:
	v_trunc_f32_e32 v1, v1
	s_mov_b32 s0, 0x2f800000
	v_mul_f32_e64 v2, |v1|, s0
	v_floor_f32_e32 v2, v2
	s_mov_b32 s0, 0xcf800000
	v_fma_f32 v2, v2, s0, |v1|
	v_cvt_u32_f32_e32 v2, v2
	v_ashrrev_i32_e32 v1, 31, v1
	v_xor_b32_e32 v2, v2, v1
	v_sub_u32_e32 v1, v2, v1
	global_store_byte v[3:4], v1, off
.LBB19_2120:
	s_mov_b64 s[6:7], -1
.LBB19_2121:
	s_andn2_b64 vcc, exec, s[6:7]
	s_cbranch_vccnz .LBB19_2198
; %bb.2122:
	v_mov_b32_e32 v1, s9
	v_add_co_u32_e32 v0, vcc, s8, v0
	s_cmp_lt_i32 s14, 11
	v_addc_co_u32_e32 v1, vcc, 0, v1, vcc
	s_cbranch_scc1 .LBB19_2199
; %bb.2123:
	s_and_b32 s12, 0xffff, s14
	s_mov_b64 s[6:7], -1
	s_mov_b64 s[4:5], 0
	s_cmp_gt_i32 s12, 25
	s_mov_b64 s[0:1], 0
	s_cbranch_scc0 .LBB19_2156
; %bb.2124:
	s_cmp_gt_i32 s12, 28
	s_cbranch_scc0 .LBB19_2140
; %bb.2125:
	s_cmp_gt_i32 s12, 43
	;; [unrolled: 3-line block ×3, first 2 shown]
	s_cbranch_scc0 .LBB19_2130
; %bb.2127:
	s_cmp_eq_u32 s12, 46
	s_mov_b64 s[0:1], -1
	s_cbranch_scc0 .LBB19_2129
; %bb.2128:
	v_bfe_u32 v2, v7, 16, 1
	s_movk_i32 s0, 0x7fff
	v_add3_u32 v2, v7, v2, s0
	v_cmp_o_f32_e32 vcc, v7, v7
	v_mov_b32_e32 v3, 0x7fc0
	v_cndmask_b32_sdwa v2, v3, v2, vcc dst_sel:DWORD dst_unused:UNUSED_PAD src0_sel:DWORD src1_sel:WORD_1
	global_store_dword v[0:1], v2, off
	s_mov_b64 s[0:1], 0
.LBB19_2129:
	s_mov_b64 s[6:7], 0
.LBB19_2130:
	s_and_b64 vcc, exec, s[6:7]
	s_cbranch_vccz .LBB19_2135
; %bb.2131:
	s_cmp_eq_u32 s12, 44
	s_mov_b64 s[0:1], -1
	s_cbranch_scc0 .LBB19_2135
; %bb.2132:
	v_bfe_u32 v2, v7, 23, 8
	s_movk_i32 s0, 0xff
	v_cmp_ne_u32_e32 vcc, s0, v2
	v_mov_b32_e32 v3, 0xff
	s_and_saveexec_b64 s[6:7], vcc
; %bb.2133:
	s_mov_b32 s0, 0x3fffff
	v_and_b32_e32 v4, 0x400000, v7
	v_and_or_b32 v2, v7, s0, v2
	v_cmp_ne_u32_e32 vcc, 0, v4
	v_cmp_ne_u32_e64 s[0:1], 0, v2
	s_and_b64 s[0:1], vcc, s[0:1]
	v_lshrrev_b32_e32 v3, 23, v7
	v_cndmask_b32_e64 v2, 0, 1, s[0:1]
	v_add_u32_e32 v3, v3, v2
; %bb.2134:
	s_or_b64 exec, exec, s[6:7]
	s_mov_b64 s[0:1], 0
	global_store_byte v[0:1], v3, off
.LBB19_2135:
	s_mov_b64 s[6:7], 0
.LBB19_2136:
	s_and_b64 vcc, exec, s[6:7]
	s_cbranch_vccz .LBB19_2139
; %bb.2137:
	s_cmp_eq_u32 s12, 29
	s_mov_b64 s[0:1], -1
	s_cbranch_scc0 .LBB19_2139
; %bb.2138:
	v_trunc_f32_e32 v2, v7
	v_mul_f32_e32 v3, 0x2f800000, v2
	v_floor_f32_e32 v4, v3
	v_fmac_f32_e32 v2, 0xcf800000, v4
	v_cvt_u32_f32_e32 v3, v4
	v_cvt_u32_f32_e32 v2, v2
	s_mov_b64 s[0:1], 0
	global_store_dwordx2 v[0:1], v[2:3], off
.LBB19_2139:
	s_mov_b64 s[6:7], 0
.LBB19_2140:
	s_and_b64 vcc, exec, s[6:7]
	s_cbranch_vccz .LBB19_2155
; %bb.2141:
	s_cmp_lt_i32 s12, 27
	s_mov_b64 s[6:7], -1
	s_cbranch_scc1 .LBB19_2147
; %bb.2142:
	s_cmp_gt_i32 s12, 27
	s_cbranch_scc0 .LBB19_2144
; %bb.2143:
	v_cvt_u32_f32_e32 v2, v7
	s_mov_b64 s[6:7], 0
	global_store_dword v[0:1], v2, off
.LBB19_2144:
	s_andn2_b64 vcc, exec, s[6:7]
	s_cbranch_vccnz .LBB19_2146
; %bb.2145:
	v_cvt_u32_f32_e32 v2, v7
	global_store_short v[0:1], v2, off
.LBB19_2146:
	s_mov_b64 s[6:7], 0
.LBB19_2147:
	s_andn2_b64 vcc, exec, s[6:7]
	s_cbranch_vccnz .LBB19_2155
; %bb.2148:
	v_and_b32_e32 v2, 0x7fffffff, v7
	s_mov_b32 s6, 0x43800000
	v_cmp_gt_u32_e32 vcc, s6, v2
	v_mov_b32_e32 v3, 0x80
	s_and_saveexec_b64 s[6:7], vcc
	s_cbranch_execz .LBB19_2154
; %bb.2149:
	s_mov_b32 s8, 0x3bffffff
	v_cmp_lt_u32_e32 vcc, s8, v2
	s_mov_b64 s[8:9], 0
                                        ; implicit-def: $vgpr2
	s_and_saveexec_b64 s[10:11], vcc
	s_xor_b64 s[10:11], exec, s[10:11]
	s_cbranch_execz .LBB19_2216
; %bb.2150:
	v_bfe_u32 v2, v7, 20, 1
	s_mov_b32 s13, 0x487ffff
	v_add3_u32 v2, v7, v2, s13
	s_mov_b64 s[8:9], exec
	v_lshrrev_b32_e32 v2, 20, v2
	s_andn2_saveexec_b64 s[10:11], s[10:11]
	s_cbranch_execnz .LBB19_2217
.LBB19_2151:
	s_or_b64 exec, exec, s[10:11]
	v_mov_b32_e32 v3, 0
	s_and_saveexec_b64 s[10:11], s[8:9]
.LBB19_2152:
	v_lshrrev_b32_e32 v3, 24, v7
	s_movk_i32 s8, 0x80
	v_and_or_b32 v3, v3, s8, v2
.LBB19_2153:
	s_or_b64 exec, exec, s[10:11]
.LBB19_2154:
	s_or_b64 exec, exec, s[6:7]
	global_store_byte v[0:1], v3, off
.LBB19_2155:
	s_mov_b64 s[6:7], 0
.LBB19_2156:
	s_and_b64 vcc, exec, s[6:7]
	s_cbranch_vccz .LBB19_2196
; %bb.2157:
	s_cmp_gt_i32 s12, 22
	s_mov_b64 s[4:5], -1
	s_cbranch_scc0 .LBB19_2189
; %bb.2158:
	s_cmp_lt_i32 s12, 24
	s_cbranch_scc1 .LBB19_2178
; %bb.2159:
	s_cmp_gt_i32 s12, 24
	s_cbranch_scc0 .LBB19_2167
; %bb.2160:
	v_and_b32_e32 v2, 0x7fffffff, v7
	s_mov_b32 s4, 0x47800000
	v_cmp_gt_u32_e32 vcc, s4, v2
	v_mov_b32_e32 v3, 0x80
	s_and_saveexec_b64 s[4:5], vcc
	s_cbranch_execz .LBB19_2166
; %bb.2161:
	s_mov_b32 s6, 0x37ffffff
	v_cmp_lt_u32_e32 vcc, s6, v2
	s_mov_b64 s[6:7], 0
                                        ; implicit-def: $vgpr2
	s_and_saveexec_b64 s[8:9], vcc
	s_xor_b64 s[8:9], exec, s[8:9]
	s_cbranch_execz .LBB19_2219
; %bb.2162:
	v_bfe_u32 v2, v7, 21, 1
	s_mov_b32 s10, 0x88fffff
	v_add3_u32 v2, v7, v2, s10
	s_mov_b64 s[6:7], exec
	v_lshrrev_b32_e32 v2, 21, v2
	s_andn2_saveexec_b64 s[8:9], s[8:9]
	s_cbranch_execnz .LBB19_2220
.LBB19_2163:
	s_or_b64 exec, exec, s[8:9]
	v_mov_b32_e32 v3, 0
	s_and_saveexec_b64 s[8:9], s[6:7]
.LBB19_2164:
	v_lshrrev_b32_e32 v3, 24, v7
	s_movk_i32 s6, 0x80
	v_and_or_b32 v3, v3, s6, v2
.LBB19_2165:
	s_or_b64 exec, exec, s[8:9]
.LBB19_2166:
	s_or_b64 exec, exec, s[4:5]
	s_mov_b64 s[4:5], 0
	global_store_byte v[0:1], v3, off
.LBB19_2167:
	s_and_b64 vcc, exec, s[4:5]
	s_cbranch_vccz .LBB19_2177
; %bb.2168:
	v_and_b32_e32 v3, 0x7fffffff, v7
	s_mov_b32 s4, 0x43f00000
	v_cmp_gt_u32_e32 vcc, s4, v3
                                        ; implicit-def: $vgpr2
	s_and_saveexec_b64 s[4:5], vcc
	s_xor_b64 s[4:5], exec, s[4:5]
	s_cbranch_execz .LBB19_2174
; %bb.2169:
	s_mov_b32 s6, 0x3c7fffff
	v_cmp_lt_u32_e32 vcc, s6, v3
                                        ; implicit-def: $vgpr2
	s_and_saveexec_b64 s[6:7], vcc
	s_xor_b64 s[6:7], exec, s[6:7]
; %bb.2170:
	v_bfe_u32 v2, v7, 20, 1
	s_mov_b32 s8, 0x407ffff
	v_add3_u32 v2, v7, v2, s8
	v_lshrrev_b32_e32 v3, 20, v2
	v_and_b32_e32 v2, 0xff00000, v2
	s_mov_b32 s8, 0x7f00000
	v_mov_b32_e32 v4, 0x7e
	v_cmp_ne_u32_e32 vcc, s8, v2
	v_cndmask_b32_e32 v2, v4, v3, vcc
; %bb.2171:
	s_andn2_saveexec_b64 s[6:7], s[6:7]
; %bb.2172:
	s_mov_b32 s8, 0x46800000
	v_add_f32_e64 v2, |v7|, s8
; %bb.2173:
	s_or_b64 exec, exec, s[6:7]
                                        ; implicit-def: $vgpr3
.LBB19_2174:
	s_andn2_saveexec_b64 s[4:5], s[4:5]
; %bb.2175:
	s_mov_b32 s6, 0x7f800000
	v_mov_b32_e32 v2, 0x7e
	v_mov_b32_e32 v4, 0x7f
	v_cmp_lt_u32_e32 vcc, s6, v3
	v_cndmask_b32_e32 v2, v2, v4, vcc
; %bb.2176:
	s_or_b64 exec, exec, s[4:5]
	v_lshrrev_b32_e32 v3, 24, v7
	s_movk_i32 s4, 0x80
	v_and_or_b32 v2, v3, s4, v2
	global_store_byte v[0:1], v2, off
.LBB19_2177:
	s_mov_b64 s[4:5], 0
.LBB19_2178:
	s_andn2_b64 vcc, exec, s[4:5]
	s_cbranch_vccnz .LBB19_2188
; %bb.2179:
	v_and_b32_e32 v3, 0x7fffffff, v7
	s_mov_b32 s4, 0x47800000
	v_cmp_gt_u32_e32 vcc, s4, v3
                                        ; implicit-def: $vgpr2
	s_and_saveexec_b64 s[4:5], vcc
	s_xor_b64 s[4:5], exec, s[4:5]
	s_cbranch_execz .LBB19_2185
; %bb.2180:
	s_mov_b32 s6, 0x387fffff
	v_cmp_lt_u32_e32 vcc, s6, v3
                                        ; implicit-def: $vgpr2
	s_and_saveexec_b64 s[6:7], vcc
	s_xor_b64 s[6:7], exec, s[6:7]
; %bb.2181:
	v_bfe_u32 v2, v7, 21, 1
	s_mov_b32 s8, 0x80fffff
	v_add3_u32 v2, v7, v2, s8
	v_lshrrev_b32_e32 v2, 21, v2
; %bb.2182:
	s_andn2_saveexec_b64 s[6:7], s[6:7]
; %bb.2183:
	s_mov_b32 s8, 0x43000000
	v_add_f32_e64 v2, |v7|, s8
; %bb.2184:
	s_or_b64 exec, exec, s[6:7]
                                        ; implicit-def: $vgpr3
.LBB19_2185:
	s_andn2_saveexec_b64 s[4:5], s[4:5]
; %bb.2186:
	s_mov_b32 s6, 0x7f800000
	v_mov_b32_e32 v2, 0x7c
	v_mov_b32_e32 v4, 0x7f
	v_cmp_lt_u32_e32 vcc, s6, v3
	v_cndmask_b32_e32 v2, v2, v4, vcc
; %bb.2187:
	s_or_b64 exec, exec, s[4:5]
	v_lshrrev_b32_e32 v3, 24, v7
	s_movk_i32 s4, 0x80
	v_and_or_b32 v2, v3, s4, v2
	global_store_byte v[0:1], v2, off
.LBB19_2188:
	s_mov_b64 s[4:5], 0
.LBB19_2189:
	s_andn2_b64 vcc, exec, s[4:5]
	s_mov_b64 s[4:5], 0
	s_cbranch_vccnz .LBB19_2196
; %bb.2190:
	s_cmp_gt_i32 s12, 14
	s_mov_b64 s[6:7], -1
	s_cbranch_scc0 .LBB19_2194
; %bb.2191:
	s_cmp_eq_u32 s12, 15
	s_mov_b64 s[0:1], -1
	s_cbranch_scc0 .LBB19_2193
; %bb.2192:
	v_bfe_u32 v2, v7, 16, 1
	s_movk_i32 s0, 0x7fff
	v_add3_u32 v2, v7, v2, s0
	v_cmp_o_f32_e32 vcc, v7, v7
	v_mov_b32_e32 v3, 0x7fc0
	v_cndmask_b32_sdwa v2, v3, v2, vcc dst_sel:DWORD dst_unused:UNUSED_PAD src0_sel:DWORD src1_sel:WORD_1
	global_store_short v[0:1], v2, off
	s_mov_b64 s[0:1], 0
.LBB19_2193:
	s_mov_b64 s[6:7], 0
.LBB19_2194:
	s_and_b64 vcc, exec, s[6:7]
	s_cbranch_vccz .LBB19_2196
; %bb.2195:
	s_cmp_lg_u32 s12, 11
	s_mov_b64 s[4:5], -1
	s_cselect_b64 s[0:1], -1, 0
.LBB19_2196:
	s_and_b64 vcc, exec, s[0:1]
	s_cbranch_vccnz .LBB19_2218
.LBB19_2197:
	s_mov_b64 s[0:1], 0
	s_branch .LBB19_1799
.LBB19_2198:
	s_mov_b64 s[0:1], 0
                                        ; implicit-def: $vgpr0_vgpr1
                                        ; implicit-def: $sgpr14
	s_branch .LBB19_1798
.LBB19_2199:
	s_mov_b64 s[4:5], 0
	s_mov_b64 s[0:1], -1
	s_branch .LBB19_1799
.LBB19_2200:
	s_trap 2
	s_or_b64 s[2:3], s[2:3], exec
	s_cbranch_execz .LBB19_1659
	s_branch .LBB19_1660
.LBB19_2201:
	s_andn2_saveexec_b64 s[12:13], s[12:13]
	s_cbranch_execz .LBB19_1747
.LBB19_2202:
	s_mov_b32 s17, 0x46000000
	v_add_f32_e64 v6, |v5|, s17
	v_and_b32_e32 v6, 0xff, v6
	v_cmp_ne_u32_e32 vcc, 0, v6
	s_andn2_b64 s[10:11], s[10:11], exec
	s_and_b64 s[18:19], vcc, exec
	s_or_b64 s[10:11], s[10:11], s[18:19]
	s_or_b64 exec, exec, s[12:13]
	v_mov_b32_e32 v10, 0
	s_and_saveexec_b64 s[12:13], s[10:11]
	s_cbranch_execnz .LBB19_1748
	s_branch .LBB19_1749
.LBB19_2203:
	s_trap 2
	s_or_b64 s[2:3], s[2:3], exec
	s_cbranch_execz .LBB19_1795
	s_branch .LBB19_1796
.LBB19_2204:
	s_andn2_saveexec_b64 s[10:11], s[10:11]
	s_cbranch_execz .LBB19_1760
.LBB19_2205:
	s_mov_b32 s12, 0x42800000
	v_add_f32_e64 v6, |v5|, s12
	v_and_b32_e32 v6, 0xff, v6
	v_cmp_ne_u32_e32 vcc, 0, v6
	s_andn2_b64 s[6:7], s[6:7], exec
	s_and_b64 s[12:13], vcc, exec
	s_or_b64 s[6:7], s[6:7], s[12:13]
	s_or_b64 exec, exec, s[10:11]
	v_mov_b32_e32 v10, 0
	s_and_saveexec_b64 s[10:11], s[6:7]
	s_cbranch_execnz .LBB19_1761
	s_branch .LBB19_1762
.LBB19_2206:
	s_andn2_saveexec_b64 s[12:13], s[12:13]
	s_cbranch_execz .LBB19_1912
.LBB19_2207:
	s_mov_b32 s16, 0x46000000
	v_add_f32_e64 v4, |v3|, s16
	v_and_b32_e32 v4, 0xff, v4
	v_cmp_ne_u32_e32 vcc, 0, v4
	s_andn2_b64 s[10:11], s[10:11], exec
	s_and_b64 s[16:17], vcc, exec
	s_or_b64 s[10:11], s[10:11], s[16:17]
	s_or_b64 exec, exec, s[12:13]
	v_mov_b32_e32 v8, 0
	s_and_saveexec_b64 s[12:13], s[10:11]
	s_cbranch_execnz .LBB19_1913
	s_branch .LBB19_1914
.LBB19_2208:
	s_trap 2
	s_or_b64 s[2:3], s[2:3], exec
	s_cbranch_execz .LBB19_1960
	s_branch .LBB19_1961
.LBB19_2209:
	s_andn2_saveexec_b64 s[10:11], s[10:11]
	s_cbranch_execz .LBB19_1925
.LBB19_2210:
	s_mov_b32 s12, 0x42800000
	v_add_f32_e64 v4, |v3|, s12
	v_and_b32_e32 v4, 0xff, v4
	v_cmp_ne_u32_e32 vcc, 0, v4
	s_andn2_b64 s[6:7], s[6:7], exec
	s_and_b64 s[12:13], vcc, exec
	s_or_b64 s[6:7], s[6:7], s[12:13]
	s_or_b64 exec, exec, s[10:11]
	v_mov_b32_e32 v8, 0
	s_and_saveexec_b64 s[10:11], s[6:7]
	s_cbranch_execnz .LBB19_1926
	s_branch .LBB19_1927
.LBB19_2211:
	s_andn2_saveexec_b64 s[12:13], s[12:13]
	s_cbranch_execz .LBB19_2031
.LBB19_2212:
	s_mov_b32 s16, 0x46000000
	v_add_f32_e64 v2, |v1|, s16
	v_and_b32_e32 v2, 0xff, v2
	v_cmp_ne_u32_e32 vcc, 0, v2
	s_andn2_b64 s[10:11], s[10:11], exec
	s_and_b64 s[16:17], vcc, exec
	s_or_b64 s[10:11], s[10:11], s[16:17]
	s_or_b64 exec, exec, s[12:13]
	v_mov_b32_e32 v5, 0
	s_and_saveexec_b64 s[12:13], s[10:11]
	s_cbranch_execnz .LBB19_2032
	s_branch .LBB19_2033
.LBB19_2213:
	s_trap 2
	s_or_b64 s[2:3], s[2:3], exec
	s_cbranch_execz .LBB19_2079
	s_branch .LBB19_2080
.LBB19_2214:
	s_andn2_saveexec_b64 s[10:11], s[10:11]
	s_cbranch_execz .LBB19_2044
.LBB19_2215:
	s_mov_b32 s12, 0x42800000
	v_add_f32_e64 v2, |v1|, s12
	v_and_b32_e32 v2, 0xff, v2
	v_cmp_ne_u32_e32 vcc, 0, v2
	s_andn2_b64 s[6:7], s[6:7], exec
	s_and_b64 s[12:13], vcc, exec
	s_or_b64 s[6:7], s[6:7], s[12:13]
	s_or_b64 exec, exec, s[10:11]
	v_mov_b32_e32 v5, 0
	s_and_saveexec_b64 s[10:11], s[6:7]
	s_cbranch_execnz .LBB19_2045
	s_branch .LBB19_2046
.LBB19_2216:
	s_andn2_saveexec_b64 s[10:11], s[10:11]
	s_cbranch_execz .LBB19_2151
.LBB19_2217:
	s_mov_b32 s13, 0x46000000
	v_add_f32_e64 v2, |v7|, s13
	v_and_b32_e32 v2, 0xff, v2
	v_cmp_ne_u32_e32 vcc, 0, v2
	s_andn2_b64 s[8:9], s[8:9], exec
	s_and_b64 s[16:17], vcc, exec
	s_or_b64 s[8:9], s[8:9], s[16:17]
	s_or_b64 exec, exec, s[10:11]
	v_mov_b32_e32 v3, 0
	s_and_saveexec_b64 s[10:11], s[8:9]
	s_cbranch_execnz .LBB19_2152
	s_branch .LBB19_2153
.LBB19_2218:
	s_mov_b64 s[4:5], 0
	s_or_b64 s[2:3], s[2:3], exec
	s_trap 2
	s_branch .LBB19_2197
.LBB19_2219:
	s_andn2_saveexec_b64 s[8:9], s[8:9]
	s_cbranch_execz .LBB19_2163
.LBB19_2220:
	s_mov_b32 s10, 0x42800000
	v_add_f32_e64 v2, |v7|, s10
	v_and_b32_e32 v2, 0xff, v2
	v_cmp_ne_u32_e32 vcc, 0, v2
	s_andn2_b64 s[6:7], s[6:7], exec
	s_and_b64 s[10:11], vcc, exec
	s_or_b64 s[6:7], s[6:7], s[10:11]
	s_or_b64 exec, exec, s[8:9]
	v_mov_b32_e32 v3, 0
	s_and_saveexec_b64 s[8:9], s[6:7]
	s_cbranch_execnz .LBB19_2164
	s_branch .LBB19_2165
	.section	.rodata,"a",@progbits
	.p2align	6, 0x0
	.amdhsa_kernel _ZN2at6native32elementwise_kernel_manual_unrollILi128ELi4EZNS0_15gpu_kernel_implIZZZNS0_12_GLOBAL__N_137scaled_modified_bessel_k0_kernel_cudaERNS_18TensorIteratorBaseEENKUlvE_clEvENKUlvE0_clEvEUlfE_EEvS5_RKT_EUlibE0_EEviT1_
		.amdhsa_group_segment_fixed_size 0
		.amdhsa_private_segment_fixed_size 0
		.amdhsa_kernarg_size 360
		.amdhsa_user_sgpr_count 6
		.amdhsa_user_sgpr_private_segment_buffer 1
		.amdhsa_user_sgpr_dispatch_ptr 0
		.amdhsa_user_sgpr_queue_ptr 0
		.amdhsa_user_sgpr_kernarg_segment_ptr 1
		.amdhsa_user_sgpr_dispatch_id 0
		.amdhsa_user_sgpr_flat_scratch_init 0
		.amdhsa_user_sgpr_private_segment_size 0
		.amdhsa_uses_dynamic_stack 0
		.amdhsa_system_sgpr_private_segment_wavefront_offset 0
		.amdhsa_system_sgpr_workgroup_id_x 1
		.amdhsa_system_sgpr_workgroup_id_y 0
		.amdhsa_system_sgpr_workgroup_id_z 0
		.amdhsa_system_sgpr_workgroup_info 0
		.amdhsa_system_vgpr_workitem_id 0
		.amdhsa_next_free_vgpr 18
		.amdhsa_next_free_sgpr 78
		.amdhsa_reserve_vcc 1
		.amdhsa_reserve_flat_scratch 0
		.amdhsa_float_round_mode_32 0
		.amdhsa_float_round_mode_16_64 0
		.amdhsa_float_denorm_mode_32 3
		.amdhsa_float_denorm_mode_16_64 3
		.amdhsa_dx10_clamp 1
		.amdhsa_ieee_mode 1
		.amdhsa_fp16_overflow 0
		.amdhsa_exception_fp_ieee_invalid_op 0
		.amdhsa_exception_fp_denorm_src 0
		.amdhsa_exception_fp_ieee_div_zero 0
		.amdhsa_exception_fp_ieee_overflow 0
		.amdhsa_exception_fp_ieee_underflow 0
		.amdhsa_exception_fp_ieee_inexact 0
		.amdhsa_exception_int_div_zero 0
	.end_amdhsa_kernel
	.section	.text._ZN2at6native32elementwise_kernel_manual_unrollILi128ELi4EZNS0_15gpu_kernel_implIZZZNS0_12_GLOBAL__N_137scaled_modified_bessel_k0_kernel_cudaERNS_18TensorIteratorBaseEENKUlvE_clEvENKUlvE0_clEvEUlfE_EEvS5_RKT_EUlibE0_EEviT1_,"axG",@progbits,_ZN2at6native32elementwise_kernel_manual_unrollILi128ELi4EZNS0_15gpu_kernel_implIZZZNS0_12_GLOBAL__N_137scaled_modified_bessel_k0_kernel_cudaERNS_18TensorIteratorBaseEENKUlvE_clEvENKUlvE0_clEvEUlfE_EEvS5_RKT_EUlibE0_EEviT1_,comdat
.Lfunc_end19:
	.size	_ZN2at6native32elementwise_kernel_manual_unrollILi128ELi4EZNS0_15gpu_kernel_implIZZZNS0_12_GLOBAL__N_137scaled_modified_bessel_k0_kernel_cudaERNS_18TensorIteratorBaseEENKUlvE_clEvENKUlvE0_clEvEUlfE_EEvS5_RKT_EUlibE0_EEviT1_, .Lfunc_end19-_ZN2at6native32elementwise_kernel_manual_unrollILi128ELi4EZNS0_15gpu_kernel_implIZZZNS0_12_GLOBAL__N_137scaled_modified_bessel_k0_kernel_cudaERNS_18TensorIteratorBaseEENKUlvE_clEvENKUlvE0_clEvEUlfE_EEvS5_RKT_EUlibE0_EEviT1_
                                        ; -- End function
	.set _ZN2at6native32elementwise_kernel_manual_unrollILi128ELi4EZNS0_15gpu_kernel_implIZZZNS0_12_GLOBAL__N_137scaled_modified_bessel_k0_kernel_cudaERNS_18TensorIteratorBaseEENKUlvE_clEvENKUlvE0_clEvEUlfE_EEvS5_RKT_EUlibE0_EEviT1_.num_vgpr, 18
	.set _ZN2at6native32elementwise_kernel_manual_unrollILi128ELi4EZNS0_15gpu_kernel_implIZZZNS0_12_GLOBAL__N_137scaled_modified_bessel_k0_kernel_cudaERNS_18TensorIteratorBaseEENKUlvE_clEvENKUlvE0_clEvEUlfE_EEvS5_RKT_EUlibE0_EEviT1_.num_agpr, 0
	.set _ZN2at6native32elementwise_kernel_manual_unrollILi128ELi4EZNS0_15gpu_kernel_implIZZZNS0_12_GLOBAL__N_137scaled_modified_bessel_k0_kernel_cudaERNS_18TensorIteratorBaseEENKUlvE_clEvENKUlvE0_clEvEUlfE_EEvS5_RKT_EUlibE0_EEviT1_.numbered_sgpr, 78
	.set _ZN2at6native32elementwise_kernel_manual_unrollILi128ELi4EZNS0_15gpu_kernel_implIZZZNS0_12_GLOBAL__N_137scaled_modified_bessel_k0_kernel_cudaERNS_18TensorIteratorBaseEENKUlvE_clEvENKUlvE0_clEvEUlfE_EEvS5_RKT_EUlibE0_EEviT1_.num_named_barrier, 0
	.set _ZN2at6native32elementwise_kernel_manual_unrollILi128ELi4EZNS0_15gpu_kernel_implIZZZNS0_12_GLOBAL__N_137scaled_modified_bessel_k0_kernel_cudaERNS_18TensorIteratorBaseEENKUlvE_clEvENKUlvE0_clEvEUlfE_EEvS5_RKT_EUlibE0_EEviT1_.private_seg_size, 0
	.set _ZN2at6native32elementwise_kernel_manual_unrollILi128ELi4EZNS0_15gpu_kernel_implIZZZNS0_12_GLOBAL__N_137scaled_modified_bessel_k0_kernel_cudaERNS_18TensorIteratorBaseEENKUlvE_clEvENKUlvE0_clEvEUlfE_EEvS5_RKT_EUlibE0_EEviT1_.uses_vcc, 1
	.set _ZN2at6native32elementwise_kernel_manual_unrollILi128ELi4EZNS0_15gpu_kernel_implIZZZNS0_12_GLOBAL__N_137scaled_modified_bessel_k0_kernel_cudaERNS_18TensorIteratorBaseEENKUlvE_clEvENKUlvE0_clEvEUlfE_EEvS5_RKT_EUlibE0_EEviT1_.uses_flat_scratch, 0
	.set _ZN2at6native32elementwise_kernel_manual_unrollILi128ELi4EZNS0_15gpu_kernel_implIZZZNS0_12_GLOBAL__N_137scaled_modified_bessel_k0_kernel_cudaERNS_18TensorIteratorBaseEENKUlvE_clEvENKUlvE0_clEvEUlfE_EEvS5_RKT_EUlibE0_EEviT1_.has_dyn_sized_stack, 0
	.set _ZN2at6native32elementwise_kernel_manual_unrollILi128ELi4EZNS0_15gpu_kernel_implIZZZNS0_12_GLOBAL__N_137scaled_modified_bessel_k0_kernel_cudaERNS_18TensorIteratorBaseEENKUlvE_clEvENKUlvE0_clEvEUlfE_EEvS5_RKT_EUlibE0_EEviT1_.has_recursion, 0
	.set _ZN2at6native32elementwise_kernel_manual_unrollILi128ELi4EZNS0_15gpu_kernel_implIZZZNS0_12_GLOBAL__N_137scaled_modified_bessel_k0_kernel_cudaERNS_18TensorIteratorBaseEENKUlvE_clEvENKUlvE0_clEvEUlfE_EEvS5_RKT_EUlibE0_EEviT1_.has_indirect_call, 0
	.section	.AMDGPU.csdata,"",@progbits
; Kernel info:
; codeLenInByte = 50492
; TotalNumSgprs: 82
; NumVgprs: 18
; ScratchSize: 0
; MemoryBound: 1
; FloatMode: 240
; IeeeMode: 1
; LDSByteSize: 0 bytes/workgroup (compile time only)
; SGPRBlocks: 10
; VGPRBlocks: 4
; NumSGPRsForWavesPerEU: 82
; NumVGPRsForWavesPerEU: 18
; Occupancy: 9
; WaveLimiterHint : 1
; COMPUTE_PGM_RSRC2:SCRATCH_EN: 0
; COMPUTE_PGM_RSRC2:USER_SGPR: 6
; COMPUTE_PGM_RSRC2:TRAP_HANDLER: 0
; COMPUTE_PGM_RSRC2:TGID_X_EN: 1
; COMPUTE_PGM_RSRC2:TGID_Y_EN: 0
; COMPUTE_PGM_RSRC2:TGID_Z_EN: 0
; COMPUTE_PGM_RSRC2:TIDIG_COMP_CNT: 0
	.section	.AMDGPU.gpr_maximums,"",@progbits
	.set amdgpu.max_num_vgpr, 37
	.set amdgpu.max_num_agpr, 0
	.set amdgpu.max_num_sgpr, 32
	.section	.AMDGPU.csdata,"",@progbits
	.type	__hip_cuid_c2fd6194d828d11b,@object ; @__hip_cuid_c2fd6194d828d11b
	.section	.bss,"aw",@nobits
	.globl	__hip_cuid_c2fd6194d828d11b
__hip_cuid_c2fd6194d828d11b:
	.byte	0                               ; 0x0
	.size	__hip_cuid_c2fd6194d828d11b, 1

	.ident	"AMD clang version 22.0.0git (https://github.com/RadeonOpenCompute/llvm-project roc-7.2.4 26084 f58b06dce1f9c15707c5f808fd002e18c2accf7e)"
	.section	".note.GNU-stack","",@progbits
	.addrsig
	.addrsig_sym __hip_cuid_c2fd6194d828d11b
	.amdgpu_metadata
---
amdhsa.kernels:
  - .args:
      - .offset:         0
        .size:           4
        .value_kind:     by_value
      - .offset:         4
        .size:           1
        .value_kind:     by_value
      - .offset:         8
        .size:           16
        .value_kind:     by_value
    .group_segment_fixed_size: 0
    .kernarg_segment_align: 8
    .kernarg_segment_size: 24
    .language:       OpenCL C
    .language_version:
      - 2
      - 0
    .max_flat_workgroup_size: 256
    .name:           _ZN2at6native29vectorized_elementwise_kernelILi16EZZZNS0_12_GLOBAL__N_137scaled_modified_bessel_k0_kernel_cudaERNS_18TensorIteratorBaseEENKUlvE_clEvENKUlvE_clEvEUldE_St5arrayIPcLm2EEEEviT0_T1_
    .private_segment_fixed_size: 0
    .sgpr_count:     37
    .sgpr_spill_count: 0
    .symbol:         _ZN2at6native29vectorized_elementwise_kernelILi16EZZZNS0_12_GLOBAL__N_137scaled_modified_bessel_k0_kernel_cudaERNS_18TensorIteratorBaseEENKUlvE_clEvENKUlvE_clEvEUldE_St5arrayIPcLm2EEEEviT0_T1_.kd
    .uniform_work_group_size: 1
    .uses_dynamic_stack: false
    .vgpr_count:     37
    .vgpr_spill_count: 0
    .wavefront_size: 64
  - .args:
      - .offset:         0
        .size:           4
        .value_kind:     by_value
      - .offset:         4
        .size:           1
        .value_kind:     by_value
      - .offset:         8
        .size:           16
        .value_kind:     by_value
    .group_segment_fixed_size: 0
    .kernarg_segment_align: 8
    .kernarg_segment_size: 24
    .language:       OpenCL C
    .language_version:
      - 2
      - 0
    .max_flat_workgroup_size: 256
    .name:           _ZN2at6native29vectorized_elementwise_kernelILi8EZZZNS0_12_GLOBAL__N_137scaled_modified_bessel_k0_kernel_cudaERNS_18TensorIteratorBaseEENKUlvE_clEvENKUlvE_clEvEUldE_St5arrayIPcLm2EEEEviT0_T1_
    .private_segment_fixed_size: 0
    .sgpr_count:     37
    .sgpr_spill_count: 0
    .symbol:         _ZN2at6native29vectorized_elementwise_kernelILi8EZZZNS0_12_GLOBAL__N_137scaled_modified_bessel_k0_kernel_cudaERNS_18TensorIteratorBaseEENKUlvE_clEvENKUlvE_clEvEUldE_St5arrayIPcLm2EEEEviT0_T1_.kd
    .uniform_work_group_size: 1
    .uses_dynamic_stack: false
    .vgpr_count:     37
    .vgpr_spill_count: 0
    .wavefront_size: 64
  - .args:
      - .offset:         0
        .size:           4
        .value_kind:     by_value
      - .offset:         4
        .size:           1
        .value_kind:     by_value
      - .offset:         8
        .size:           16
        .value_kind:     by_value
    .group_segment_fixed_size: 0
    .kernarg_segment_align: 8
    .kernarg_segment_size: 24
    .language:       OpenCL C
    .language_version:
      - 2
      - 0
    .max_flat_workgroup_size: 256
    .name:           _ZN2at6native29vectorized_elementwise_kernelILi4EZZZNS0_12_GLOBAL__N_137scaled_modified_bessel_k0_kernel_cudaERNS_18TensorIteratorBaseEENKUlvE_clEvENKUlvE_clEvEUldE_St5arrayIPcLm2EEEEviT0_T1_
    .private_segment_fixed_size: 0
    .sgpr_count:     37
    .sgpr_spill_count: 0
    .symbol:         _ZN2at6native29vectorized_elementwise_kernelILi4EZZZNS0_12_GLOBAL__N_137scaled_modified_bessel_k0_kernel_cudaERNS_18TensorIteratorBaseEENKUlvE_clEvENKUlvE_clEvEUldE_St5arrayIPcLm2EEEEviT0_T1_.kd
    .uniform_work_group_size: 1
    .uses_dynamic_stack: false
    .vgpr_count:     37
    .vgpr_spill_count: 0
    .wavefront_size: 64
  - .args:
      - .offset:         0
        .size:           4
        .value_kind:     by_value
      - .offset:         4
        .size:           1
        .value_kind:     by_value
      - .offset:         8
        .size:           16
        .value_kind:     by_value
    .group_segment_fixed_size: 0
    .kernarg_segment_align: 8
    .kernarg_segment_size: 24
    .language:       OpenCL C
    .language_version:
      - 2
      - 0
    .max_flat_workgroup_size: 256
    .name:           _ZN2at6native29vectorized_elementwise_kernelILi2EZZZNS0_12_GLOBAL__N_137scaled_modified_bessel_k0_kernel_cudaERNS_18TensorIteratorBaseEENKUlvE_clEvENKUlvE_clEvEUldE_St5arrayIPcLm2EEEEviT0_T1_
    .private_segment_fixed_size: 0
    .sgpr_count:     50
    .sgpr_spill_count: 0
    .symbol:         _ZN2at6native29vectorized_elementwise_kernelILi2EZZZNS0_12_GLOBAL__N_137scaled_modified_bessel_k0_kernel_cudaERNS_18TensorIteratorBaseEENKUlvE_clEvENKUlvE_clEvEUldE_St5arrayIPcLm2EEEEviT0_T1_.kd
    .uniform_work_group_size: 1
    .uses_dynamic_stack: false
    .vgpr_count:     48
    .vgpr_spill_count: 0
    .wavefront_size: 64
  - .args:
      - .offset:         0
        .size:           4
        .value_kind:     by_value
      - .offset:         4
        .size:           1
        .value_kind:     by_value
      - .offset:         8
        .size:           16
        .value_kind:     by_value
      - .offset:         24
        .size:           1
        .value_kind:     by_value
      - .offset:         25
        .size:           1
        .value_kind:     by_value
      - .offset:         26
        .size:           1
        .value_kind:     by_value
      - .offset:         27
        .size:           1
        .value_kind:     by_value
    .group_segment_fixed_size: 0
    .kernarg_segment_align: 8
    .kernarg_segment_size: 28
    .language:       OpenCL C
    .language_version:
      - 2
      - 0
    .max_flat_workgroup_size: 256
    .name:           _ZN2at6native27unrolled_elementwise_kernelIZZZNS0_12_GLOBAL__N_137scaled_modified_bessel_k0_kernel_cudaERNS_18TensorIteratorBaseEENKUlvE_clEvENKUlvE_clEvEUldE_St5arrayIPcLm2EELi4E23TrivialOffsetCalculatorILi1EjESC_NS0_6memory15LoadWithoutCastENSD_16StoreWithoutCastEEEviT_T0_T2_T3_T4_T5_
    .private_segment_fixed_size: 0
    .sgpr_count:     37
    .sgpr_spill_count: 0
    .symbol:         _ZN2at6native27unrolled_elementwise_kernelIZZZNS0_12_GLOBAL__N_137scaled_modified_bessel_k0_kernel_cudaERNS_18TensorIteratorBaseEENKUlvE_clEvENKUlvE_clEvEUldE_St5arrayIPcLm2EELi4E23TrivialOffsetCalculatorILi1EjESC_NS0_6memory15LoadWithoutCastENSD_16StoreWithoutCastEEEviT_T0_T2_T3_T4_T5_.kd
    .uniform_work_group_size: 1
    .uses_dynamic_stack: false
    .vgpr_count:     37
    .vgpr_spill_count: 0
    .wavefront_size: 64
  - .args:
      - .offset:         0
        .size:           4
        .value_kind:     by_value
      - .offset:         8
        .size:           352
        .value_kind:     by_value
    .group_segment_fixed_size: 0
    .kernarg_segment_align: 8
    .kernarg_segment_size: 360
    .language:       OpenCL C
    .language_version:
      - 2
      - 0
    .max_flat_workgroup_size: 128
    .name:           _ZN2at6native32elementwise_kernel_manual_unrollILi128ELi4EZNS0_22gpu_kernel_impl_nocastIZZZNS0_12_GLOBAL__N_137scaled_modified_bessel_k0_kernel_cudaERNS_18TensorIteratorBaseEENKUlvE_clEvENKUlvE_clEvEUldE_EEvS5_RKT_EUlibE_EEviT1_
    .private_segment_fixed_size: 0
    .sgpr_count:     68
    .sgpr_spill_count: 0
    .symbol:         _ZN2at6native32elementwise_kernel_manual_unrollILi128ELi4EZNS0_22gpu_kernel_impl_nocastIZZZNS0_12_GLOBAL__N_137scaled_modified_bessel_k0_kernel_cudaERNS_18TensorIteratorBaseEENKUlvE_clEvENKUlvE_clEvEUldE_EEvS5_RKT_EUlibE_EEviT1_.kd
    .uniform_work_group_size: 1
    .uses_dynamic_stack: false
    .vgpr_count:     50
    .vgpr_spill_count: 0
    .wavefront_size: 64
  - .args:
      - .offset:         0
        .size:           4
        .value_kind:     by_value
      - .offset:         8
        .size:           32
        .value_kind:     by_value
    .group_segment_fixed_size: 0
    .kernarg_segment_align: 8
    .kernarg_segment_size: 40
    .language:       OpenCL C
    .language_version:
      - 2
      - 0
    .max_flat_workgroup_size: 128
    .name:           _ZN2at6native32elementwise_kernel_manual_unrollILi128ELi4EZNS0_15gpu_kernel_implIZZZNS0_12_GLOBAL__N_137scaled_modified_bessel_k0_kernel_cudaERNS_18TensorIteratorBaseEENKUlvE_clEvENKUlvE_clEvEUldE_EEvS5_RKT_EUlibE_EEviT1_
    .private_segment_fixed_size: 0
    .sgpr_count:     64
    .sgpr_spill_count: 0
    .symbol:         _ZN2at6native32elementwise_kernel_manual_unrollILi128ELi4EZNS0_15gpu_kernel_implIZZZNS0_12_GLOBAL__N_137scaled_modified_bessel_k0_kernel_cudaERNS_18TensorIteratorBaseEENKUlvE_clEvENKUlvE_clEvEUldE_EEvS5_RKT_EUlibE_EEviT1_.kd
    .uniform_work_group_size: 1
    .uses_dynamic_stack: false
    .vgpr_count:     45
    .vgpr_spill_count: 0
    .wavefront_size: 64
  - .args:
      - .offset:         0
        .size:           4
        .value_kind:     by_value
      - .offset:         8
        .size:           352
        .value_kind:     by_value
    .group_segment_fixed_size: 0
    .kernarg_segment_align: 8
    .kernarg_segment_size: 360
    .language:       OpenCL C
    .language_version:
      - 2
      - 0
    .max_flat_workgroup_size: 128
    .name:           _ZN2at6native32elementwise_kernel_manual_unrollILi128ELi4EZNS0_15gpu_kernel_implIZZZNS0_12_GLOBAL__N_137scaled_modified_bessel_k0_kernel_cudaERNS_18TensorIteratorBaseEENKUlvE_clEvENKUlvE_clEvEUldE_EEvS5_RKT_EUlibE0_EEviT1_
    .private_segment_fixed_size: 0
    .sgpr_count:     88
    .sgpr_spill_count: 0
    .symbol:         _ZN2at6native32elementwise_kernel_manual_unrollILi128ELi4EZNS0_15gpu_kernel_implIZZZNS0_12_GLOBAL__N_137scaled_modified_bessel_k0_kernel_cudaERNS_18TensorIteratorBaseEENKUlvE_clEvENKUlvE_clEvEUldE_EEvS5_RKT_EUlibE0_EEviT1_.kd
    .uniform_work_group_size: 1
    .uses_dynamic_stack: false
    .vgpr_count:     51
    .vgpr_spill_count: 0
    .wavefront_size: 64
  - .args:
      - .offset:         0
        .size:           4
        .value_kind:     by_value
      - .offset:         4
        .size:           1
        .value_kind:     by_value
      - .offset:         8
        .size:           16
        .value_kind:     by_value
    .group_segment_fixed_size: 0
    .kernarg_segment_align: 8
    .kernarg_segment_size: 24
    .language:       OpenCL C
    .language_version:
      - 2
      - 0
    .max_flat_workgroup_size: 256
    .name:           _ZN2at6native29vectorized_elementwise_kernelILi16EZZZNS0_12_GLOBAL__N_137scaled_modified_bessel_k0_kernel_cudaERNS_18TensorIteratorBaseEENKUlvE_clEvENKUlvE0_clEvEUlfE_St5arrayIPcLm2EEEEviT0_T1_
    .private_segment_fixed_size: 0
    .sgpr_count:     37
    .sgpr_spill_count: 0
    .symbol:         _ZN2at6native29vectorized_elementwise_kernelILi16EZZZNS0_12_GLOBAL__N_137scaled_modified_bessel_k0_kernel_cudaERNS_18TensorIteratorBaseEENKUlvE_clEvENKUlvE0_clEvEUlfE_St5arrayIPcLm2EEEEviT0_T1_.kd
    .uniform_work_group_size: 1
    .uses_dynamic_stack: false
    .vgpr_count:     32
    .vgpr_spill_count: 0
    .wavefront_size: 64
  - .args:
      - .offset:         0
        .size:           4
        .value_kind:     by_value
      - .offset:         4
        .size:           1
        .value_kind:     by_value
      - .offset:         8
        .size:           16
        .value_kind:     by_value
    .group_segment_fixed_size: 0
    .kernarg_segment_align: 8
    .kernarg_segment_size: 24
    .language:       OpenCL C
    .language_version:
      - 2
      - 0
    .max_flat_workgroup_size: 256
    .name:           _ZN2at6native29vectorized_elementwise_kernelILi8EZZZNS0_12_GLOBAL__N_137scaled_modified_bessel_k0_kernel_cudaERNS_18TensorIteratorBaseEENKUlvE_clEvENKUlvE0_clEvEUlfE_St5arrayIPcLm2EEEEviT0_T1_
    .private_segment_fixed_size: 0
    .sgpr_count:     37
    .sgpr_spill_count: 0
    .symbol:         _ZN2at6native29vectorized_elementwise_kernelILi8EZZZNS0_12_GLOBAL__N_137scaled_modified_bessel_k0_kernel_cudaERNS_18TensorIteratorBaseEENKUlvE_clEvENKUlvE0_clEvEUlfE_St5arrayIPcLm2EEEEviT0_T1_.kd
    .uniform_work_group_size: 1
    .uses_dynamic_stack: false
    .vgpr_count:     32
    .vgpr_spill_count: 0
    .wavefront_size: 64
  - .args:
      - .offset:         0
        .size:           4
        .value_kind:     by_value
      - .offset:         4
        .size:           1
        .value_kind:     by_value
      - .offset:         8
        .size:           16
        .value_kind:     by_value
    .group_segment_fixed_size: 0
    .kernarg_segment_align: 8
    .kernarg_segment_size: 24
    .language:       OpenCL C
    .language_version:
      - 2
      - 0
    .max_flat_workgroup_size: 256
    .name:           _ZN2at6native29vectorized_elementwise_kernelILi4EZZZNS0_12_GLOBAL__N_137scaled_modified_bessel_k0_kernel_cudaERNS_18TensorIteratorBaseEENKUlvE_clEvENKUlvE0_clEvEUlfE_St5arrayIPcLm2EEEEviT0_T1_
    .private_segment_fixed_size: 0
    .sgpr_count:     37
    .sgpr_spill_count: 0
    .symbol:         _ZN2at6native29vectorized_elementwise_kernelILi4EZZZNS0_12_GLOBAL__N_137scaled_modified_bessel_k0_kernel_cudaERNS_18TensorIteratorBaseEENKUlvE_clEvENKUlvE0_clEvEUlfE_St5arrayIPcLm2EEEEviT0_T1_.kd
    .uniform_work_group_size: 1
    .uses_dynamic_stack: false
    .vgpr_count:     32
    .vgpr_spill_count: 0
    .wavefront_size: 64
  - .args:
      - .offset:         0
        .size:           4
        .value_kind:     by_value
      - .offset:         4
        .size:           1
        .value_kind:     by_value
      - .offset:         8
        .size:           16
        .value_kind:     by_value
    .group_segment_fixed_size: 0
    .kernarg_segment_align: 8
    .kernarg_segment_size: 24
    .language:       OpenCL C
    .language_version:
      - 2
      - 0
    .max_flat_workgroup_size: 256
    .name:           _ZN2at6native29vectorized_elementwise_kernelILi2EZZZNS0_12_GLOBAL__N_137scaled_modified_bessel_k0_kernel_cudaERNS_18TensorIteratorBaseEENKUlvE_clEvENKUlvE0_clEvEUlfE_St5arrayIPcLm2EEEEviT0_T1_
    .private_segment_fixed_size: 0
    .sgpr_count:     37
    .sgpr_spill_count: 0
    .symbol:         _ZN2at6native29vectorized_elementwise_kernelILi2EZZZNS0_12_GLOBAL__N_137scaled_modified_bessel_k0_kernel_cudaERNS_18TensorIteratorBaseEENKUlvE_clEvENKUlvE0_clEvEUlfE_St5arrayIPcLm2EEEEviT0_T1_.kd
    .uniform_work_group_size: 1
    .uses_dynamic_stack: false
    .vgpr_count:     32
    .vgpr_spill_count: 0
    .wavefront_size: 64
  - .args:
      - .offset:         0
        .size:           4
        .value_kind:     by_value
      - .offset:         4
        .size:           1
        .value_kind:     by_value
      - .offset:         8
        .size:           16
        .value_kind:     by_value
      - .offset:         24
        .size:           1
        .value_kind:     by_value
      - .offset:         25
        .size:           1
        .value_kind:     by_value
      - .offset:         26
        .size:           1
        .value_kind:     by_value
      - .offset:         27
        .size:           1
        .value_kind:     by_value
    .group_segment_fixed_size: 0
    .kernarg_segment_align: 8
    .kernarg_segment_size: 28
    .language:       OpenCL C
    .language_version:
      - 2
      - 0
    .max_flat_workgroup_size: 256
    .name:           _ZN2at6native27unrolled_elementwise_kernelIZZZNS0_12_GLOBAL__N_137scaled_modified_bessel_k0_kernel_cudaERNS_18TensorIteratorBaseEENKUlvE_clEvENKUlvE0_clEvEUlfE_St5arrayIPcLm2EELi4E23TrivialOffsetCalculatorILi1EjESC_NS0_6memory15LoadWithoutCastENSD_16StoreWithoutCastEEEviT_T0_T2_T3_T4_T5_
    .private_segment_fixed_size: 0
    .sgpr_count:     37
    .sgpr_spill_count: 0
    .symbol:         _ZN2at6native27unrolled_elementwise_kernelIZZZNS0_12_GLOBAL__N_137scaled_modified_bessel_k0_kernel_cudaERNS_18TensorIteratorBaseEENKUlvE_clEvENKUlvE0_clEvEUlfE_St5arrayIPcLm2EELi4E23TrivialOffsetCalculatorILi1EjESC_NS0_6memory15LoadWithoutCastENSD_16StoreWithoutCastEEEviT_T0_T2_T3_T4_T5_.kd
    .uniform_work_group_size: 1
    .uses_dynamic_stack: false
    .vgpr_count:     32
    .vgpr_spill_count: 0
    .wavefront_size: 64
  - .args:
      - .offset:         0
        .size:           4
        .value_kind:     by_value
      - .offset:         8
        .size:           352
        .value_kind:     by_value
    .group_segment_fixed_size: 0
    .kernarg_segment_align: 8
    .kernarg_segment_size: 360
    .language:       OpenCL C
    .language_version:
      - 2
      - 0
    .max_flat_workgroup_size: 128
    .name:           _ZN2at6native32elementwise_kernel_manual_unrollILi128ELi4EZNS0_22gpu_kernel_impl_nocastIZZZNS0_12_GLOBAL__N_137scaled_modified_bessel_k0_kernel_cudaERNS_18TensorIteratorBaseEENKUlvE_clEvENKUlvE0_clEvEUlfE_EEvS5_RKT_EUlibE_EEviT1_
    .private_segment_fixed_size: 0
    .sgpr_count:     64
    .sgpr_spill_count: 0
    .symbol:         _ZN2at6native32elementwise_kernel_manual_unrollILi128ELi4EZNS0_22gpu_kernel_impl_nocastIZZZNS0_12_GLOBAL__N_137scaled_modified_bessel_k0_kernel_cudaERNS_18TensorIteratorBaseEENKUlvE_clEvENKUlvE0_clEvEUlfE_EEvS5_RKT_EUlibE_EEviT1_.kd
    .uniform_work_group_size: 1
    .uses_dynamic_stack: false
    .vgpr_count:     19
    .vgpr_spill_count: 0
    .wavefront_size: 64
  - .args:
      - .offset:         0
        .size:           4
        .value_kind:     by_value
      - .offset:         8
        .size:           32
        .value_kind:     by_value
    .group_segment_fixed_size: 0
    .kernarg_segment_align: 8
    .kernarg_segment_size: 40
    .language:       OpenCL C
    .language_version:
      - 2
      - 0
    .max_flat_workgroup_size: 128
    .name:           _ZN2at6native32elementwise_kernel_manual_unrollILi128ELi4EZNS0_15gpu_kernel_implIZZZNS0_12_GLOBAL__N_137scaled_modified_bessel_k0_kernel_cudaERNS_18TensorIteratorBaseEENKUlvE_clEvENKUlvE0_clEvEUlfE_EEvS5_RKT_EUlibE_EEviT1_
    .private_segment_fixed_size: 0
    .sgpr_count:     48
    .sgpr_spill_count: 0
    .symbol:         _ZN2at6native32elementwise_kernel_manual_unrollILi128ELi4EZNS0_15gpu_kernel_implIZZZNS0_12_GLOBAL__N_137scaled_modified_bessel_k0_kernel_cudaERNS_18TensorIteratorBaseEENKUlvE_clEvENKUlvE0_clEvEUlfE_EEvS5_RKT_EUlibE_EEviT1_.kd
    .uniform_work_group_size: 1
    .uses_dynamic_stack: false
    .vgpr_count:     15
    .vgpr_spill_count: 0
    .wavefront_size: 64
  - .args:
      - .offset:         0
        .size:           4
        .value_kind:     by_value
      - .offset:         8
        .size:           352
        .value_kind:     by_value
    .group_segment_fixed_size: 0
    .kernarg_segment_align: 8
    .kernarg_segment_size: 360
    .language:       OpenCL C
    .language_version:
      - 2
      - 0
    .max_flat_workgroup_size: 128
    .name:           _ZN2at6native32elementwise_kernel_manual_unrollILi128ELi4EZNS0_15gpu_kernel_implIZZZNS0_12_GLOBAL__N_137scaled_modified_bessel_k0_kernel_cudaERNS_18TensorIteratorBaseEENKUlvE_clEvENKUlvE0_clEvEUlfE_EEvS5_RKT_EUlibE0_EEviT1_
    .private_segment_fixed_size: 0
    .sgpr_count:     82
    .sgpr_spill_count: 0
    .symbol:         _ZN2at6native32elementwise_kernel_manual_unrollILi128ELi4EZNS0_15gpu_kernel_implIZZZNS0_12_GLOBAL__N_137scaled_modified_bessel_k0_kernel_cudaERNS_18TensorIteratorBaseEENKUlvE_clEvENKUlvE0_clEvEUlfE_EEvS5_RKT_EUlibE0_EEviT1_.kd
    .uniform_work_group_size: 1
    .uses_dynamic_stack: false
    .vgpr_count:     18
    .vgpr_spill_count: 0
    .wavefront_size: 64
amdhsa.target:   amdgcn-amd-amdhsa--gfx906
amdhsa.version:
  - 1
  - 2
...

	.end_amdgpu_metadata
